;; amdgpu-corpus repo=ROCm/rocFFT kind=compiled arch=gfx1201 opt=O3
	.text
	.amdgcn_target "amdgcn-amd-amdhsa--gfx1201"
	.amdhsa_code_object_version 6
	.protected	fft_rtc_fwd_len169_factors_13_13_wgs_156_tpt_13_sp_op_CI_CI_sbrc_aligned_dirReg ; -- Begin function fft_rtc_fwd_len169_factors_13_13_wgs_156_tpt_13_sp_op_CI_CI_sbrc_aligned_dirReg
	.globl	fft_rtc_fwd_len169_factors_13_13_wgs_156_tpt_13_sp_op_CI_CI_sbrc_aligned_dirReg
	.p2align	8
	.type	fft_rtc_fwd_len169_factors_13_13_wgs_156_tpt_13_sp_op_CI_CI_sbrc_aligned_dirReg,@function
fft_rtc_fwd_len169_factors_13_13_wgs_156_tpt_13_sp_op_CI_CI_sbrc_aligned_dirReg: ; @fft_rtc_fwd_len169_factors_13_13_wgs_156_tpt_13_sp_op_CI_CI_sbrc_aligned_dirReg
; %bb.0:
	s_clause 0x1
	s_load_b256 s[4:11], s[0:1], 0x0
	s_load_b64 s[24:25], s[0:1], 0x20
	s_mov_b32 s29, 0
	s_mov_b64 s[34:35], 2
	s_mov_b32 s21, s29
	s_wait_kmcnt 0x0
	s_load_b32 s2, s[8:9], 0x8
	s_load_b128 s[16:19], s[10:11], 0x0
	s_load_b128 s[12:15], s[24:25], 0x0
	s_wait_kmcnt 0x0
	s_add_co_i32 s2, s2, -1
	s_delay_alu instid0(SALU_CYCLE_1) | instskip(NEXT) | instid1(SALU_CYCLE_1)
	s_mul_hi_u32 s2, s2, 0xaaaaaaab
	s_lshr_b32 s2, s2, 3
	s_delay_alu instid0(SALU_CYCLE_1) | instskip(NEXT) | instid1(SALU_CYCLE_1)
	s_add_co_i32 s33, s2, 1
	s_cvt_f32_u32 s2, s33
	s_sub_co_i32 s3, 0, s33
	s_delay_alu instid0(SALU_CYCLE_2) | instskip(NEXT) | instid1(TRANS32_DEP_1)
	v_rcp_iflag_f32_e32 v1, s2
	v_readfirstlane_b32 s2, v1
	s_delay_alu instid0(VALU_DEP_1) | instskip(SKIP_1) | instid1(SALU_CYCLE_2)
	s_mul_f32 s2, s2, 0x4f7ffffe
	s_wait_alu 0xfffe
	s_cvt_u32_f32 s2, s2
	s_wait_alu 0xfffe
	s_delay_alu instid0(SALU_CYCLE_2)
	s_mul_i32 s3, s3, s2
	s_wait_alu 0xfffe
	s_mul_hi_u32 s3, s2, s3
	s_wait_alu 0xfffe
	s_add_co_i32 s2, s2, s3
	s_wait_alu 0xfffe
	s_mul_hi_u32 s3, ttmp9, s2
	s_wait_alu 0xfffe
	s_mul_i32 s2, s3, s33
	s_add_co_i32 s19, s3, 1
	s_wait_alu 0xfffe
	s_sub_co_i32 s15, ttmp9, s2
	s_mov_b32 s2, 3
	s_sub_co_i32 s20, s15, s33
	s_cmp_ge_u32 s15, s33
	s_cselect_b32 s3, s19, s3
	s_cselect_b32 s15, s20, s15
	s_wait_alu 0xfffe
	s_add_co_i32 s19, s3, 1
	s_cmp_ge_u32 s15, s33
	s_cselect_b32 s22, s19, s3
	v_cmp_gt_u64_e64 s3, s[6:7], 2
	s_mul_i32 s15, s22, s33
	s_delay_alu instid0(SALU_CYCLE_1) | instskip(NEXT) | instid1(SALU_CYCLE_1)
	s_sub_co_i32 s15, ttmp9, s15
	s_mul_i32 s20, s15, 12
	s_delay_alu instid0(VALU_DEP_1)
	s_and_b32 vcc_lo, exec_lo, s3
	s_mul_i32 s28, s20, s18
	s_mul_u64 s[20:21], s[12:13], s[20:21]
	s_cbranch_vccz .LBB0_8
; %bb.1:
	s_mov_b32 s30, ttmp9
	s_mov_b32 s31, s29
	s_mov_b64 s[26:27], s[28:29]
	s_mov_b32 s28, s22
.LBB0_2:                                ; =>This Inner Loop Header: Depth=1
	s_lshl_b64 s[34:35], s[34:35], 3
	s_mov_b32 s36, s29
	s_add_nc_u64 s[22:23], s[8:9], s[34:35]
	s_load_b64 s[22:23], s[22:23], 0x0
	s_wait_kmcnt 0x0
	s_mov_b32 s37, s23
	s_delay_alu instid0(SALU_CYCLE_1)
	s_cmp_lg_u64 s[36:37], 0
	s_cbranch_scc0 .LBB0_7
; %bb.3:                                ;   in Loop: Header=BB0_2 Depth=1
	s_cvt_f32_u32 s3, s22
	s_cvt_f32_u32 s15, s23
	s_sub_nc_u64 s[40:41], 0, s[22:23]
	s_mov_b32 s37, 0
	s_mov_b32 s45, s29
	s_wait_alu 0xfffe
	s_fmamk_f32 s3, s15, 0x4f800000, s3
	s_wait_alu 0xfffe
	s_delay_alu instid0(SALU_CYCLE_2) | instskip(NEXT) | instid1(TRANS32_DEP_1)
	v_s_rcp_f32 s3, s3
	s_mul_f32 s3, s3, 0x5f7ffffc
	s_wait_alu 0xfffe
	s_delay_alu instid0(SALU_CYCLE_2) | instskip(NEXT) | instid1(SALU_CYCLE_3)
	s_mul_f32 s15, s3, 0x2f800000
	s_trunc_f32 s15, s15
	s_delay_alu instid0(SALU_CYCLE_3) | instskip(SKIP_2) | instid1(SALU_CYCLE_1)
	s_fmamk_f32 s3, s15, 0xcf800000, s3
	s_cvt_u32_f32 s39, s15
	s_wait_alu 0xfffe
	s_cvt_u32_f32 s38, s3
	s_wait_alu 0xfffe
	s_delay_alu instid0(SALU_CYCLE_2)
	s_mul_u64 s[42:43], s[40:41], s[38:39]
	s_wait_alu 0xfffe
	s_mul_hi_u32 s47, s38, s43
	s_mul_i32 s46, s38, s43
	s_mul_hi_u32 s36, s38, s42
	s_mul_i32 s15, s39, s42
	s_add_nc_u64 s[46:47], s[36:37], s[46:47]
	s_mul_hi_u32 s3, s39, s42
	s_mul_hi_u32 s19, s39, s43
	s_add_co_u32 s15, s46, s15
	s_wait_alu 0xfffe
	s_add_co_ci_u32 s44, s47, s3
	s_mul_i32 s42, s39, s43
	s_add_co_ci_u32 s43, s19, 0
	s_wait_alu 0xfffe
	s_add_nc_u64 s[42:43], s[44:45], s[42:43]
	s_wait_alu 0xfffe
	v_add_co_u32 v1, s3, s38, s42
	s_delay_alu instid0(VALU_DEP_1) | instskip(SKIP_1) | instid1(VALU_DEP_1)
	s_cmp_lg_u32 s3, 0
	s_add_co_ci_u32 s39, s39, s43
	v_readfirstlane_b32 s38, v1
	s_mov_b32 s43, s29
	s_wait_alu 0xfffe
	s_delay_alu instid0(VALU_DEP_1)
	s_mul_u64 s[40:41], s[40:41], s[38:39]
	s_wait_alu 0xfffe
	s_mul_hi_u32 s45, s38, s41
	s_mul_i32 s44, s38, s41
	s_mul_hi_u32 s36, s38, s40
	s_mul_i32 s15, s39, s40
	s_add_nc_u64 s[44:45], s[36:37], s[44:45]
	s_mul_hi_u32 s3, s39, s40
	s_mul_hi_u32 s19, s39, s41
	s_add_co_u32 s15, s44, s15
	s_wait_alu 0xfffe
	s_add_co_ci_u32 s42, s45, s3
	s_mul_i32 s40, s39, s41
	s_add_co_ci_u32 s41, s19, 0
	s_wait_alu 0xfffe
	s_add_nc_u64 s[40:41], s[42:43], s[40:41]
	s_mov_b32 s42, s29
	s_wait_alu 0xfffe
	v_add_co_u32 v1, s3, v1, s40
	s_delay_alu instid0(VALU_DEP_1) | instskip(SKIP_1) | instid1(VALU_DEP_1)
	s_cmp_lg_u32 s3, 0
	s_add_co_ci_u32 s15, s39, s41
	v_readfirstlane_b32 s3, v1
	s_mul_hi_u32 s41, s28, s15
	s_mul_i32 s40, s28, s15
	s_mov_b32 s39, s29
	s_delay_alu instid0(VALU_DEP_1)
	s_mul_hi_u32 s36, s28, s3
	s_wait_alu 0xfffe
	s_add_nc_u64 s[40:41], s[36:37], s[40:41]
	s_wait_alu 0xfffe
	s_mov_b32 s38, s41
	s_wait_alu 0xfffe
	s_or_b64 s[38:39], s[38:39], s[42:43]
	s_mov_b32 s38, s41
	s_wait_alu 0xfffe
	s_mul_u64 s[42:43], s[22:23], s[38:39]
	s_add_nc_u64 s[44:45], s[38:39], 1
	s_wait_alu 0xfffe
	v_sub_co_u32 v1, s3, s28, s42
	s_sub_co_i32 s15, 0, s43
	s_cmp_lg_u32 s3, 0
	s_add_nc_u64 s[46:47], s[38:39], 2
	s_delay_alu instid0(VALU_DEP_1) | instskip(SKIP_2) | instid1(VALU_DEP_1)
	v_sub_co_u32 v2, s19, v1, s22
	s_sub_co_ci_u32 s15, s15, s23
	s_cmp_lg_u32 s19, 0
	v_readfirstlane_b32 s19, v2
	s_sub_co_ci_u32 s15, s15, 0
	s_delay_alu instid0(SALU_CYCLE_1) | instskip(SKIP_1) | instid1(VALU_DEP_1)
	s_cmp_ge_u32 s15, s23
	s_cselect_b32 s36, -1, 0
	s_cmp_ge_u32 s19, s22
	s_cselect_b32 s19, -1, 0
	s_cmp_eq_u32 s15, s23
	s_cselect_b32 s15, s19, s36
	s_delay_alu instid0(SALU_CYCLE_1)
	s_cmp_lg_u32 s15, 0
	s_cselect_b32 s15, s46, s44
	s_cselect_b32 s19, s47, s45
	s_cmp_lg_u32 s3, 0
	v_readfirstlane_b32 s3, v1
	s_sub_co_ci_u32 s36, 0, s43
	s_delay_alu instid0(SALU_CYCLE_1) | instskip(SKIP_1) | instid1(VALU_DEP_1)
	s_cmp_ge_u32 s36, s23
	s_cselect_b32 s38, -1, 0
	s_cmp_ge_u32 s3, s22
	s_cselect_b32 s3, -1, 0
	s_cmp_eq_u32 s36, s23
	s_wait_alu 0xfffe
	s_cselect_b32 s3, s3, s38
	s_wait_alu 0xfffe
	s_cmp_lg_u32 s3, 0
	s_cselect_b32 s39, s19, s39
	s_cselect_b32 s38, s15, s41
	s_cbranch_execnz .LBB0_5
.LBB0_4:                                ;   in Loop: Header=BB0_2 Depth=1
	v_cvt_f32_u32_e32 v1, s22
	s_sub_co_i32 s15, 0, s22
	s_mov_b32 s39, s29
	s_delay_alu instid0(VALU_DEP_1) | instskip(NEXT) | instid1(TRANS32_DEP_1)
	v_rcp_iflag_f32_e32 v1, v1
	v_mul_f32_e32 v1, 0x4f7ffffe, v1
	s_delay_alu instid0(VALU_DEP_1) | instskip(NEXT) | instid1(VALU_DEP_1)
	v_cvt_u32_f32_e32 v1, v1
	v_readfirstlane_b32 s3, v1
	s_delay_alu instid0(VALU_DEP_1) | instskip(NEXT) | instid1(SALU_CYCLE_1)
	s_mul_i32 s15, s15, s3
	s_mul_hi_u32 s15, s3, s15
	s_delay_alu instid0(SALU_CYCLE_1)
	s_add_co_i32 s3, s3, s15
	s_wait_alu 0xfffe
	s_mul_hi_u32 s3, s28, s3
	s_wait_alu 0xfffe
	s_mul_i32 s15, s3, s22
	s_add_co_i32 s19, s3, 1
	s_sub_co_i32 s15, s28, s15
	s_delay_alu instid0(SALU_CYCLE_1)
	s_sub_co_i32 s36, s15, s22
	s_cmp_ge_u32 s15, s22
	s_cselect_b32 s3, s19, s3
	s_cselect_b32 s15, s36, s15
	s_wait_alu 0xfffe
	s_add_co_i32 s19, s3, 1
	s_cmp_ge_u32 s15, s22
	s_cselect_b32 s38, s19, s3
.LBB0_5:                                ;   in Loop: Header=BB0_2 Depth=1
	s_add_nc_u64 s[36:37], s[10:11], s[34:35]
	s_add_nc_u64 s[34:35], s[24:25], s[34:35]
	s_load_b64 s[36:37], s[36:37], 0x0
	s_load_b64 s[40:41], s[34:35], 0x0
	s_mov_b32 s3, s29
	s_mul_u64 s[34:35], s[38:39], s[22:23]
	s_wait_alu 0xfffe
	v_cmp_ge_u64_e64 s15, s[2:3], s[6:7]
	s_mul_i32 s33, s33, s22
	s_sub_nc_u64 s[22:23], s[28:29], s[34:35]
	s_mov_b64 s[34:35], s[2:3]
	s_add_co_i32 s2, s2, 1
	s_delay_alu instid0(VALU_DEP_1)
	s_and_b32 vcc_lo, exec_lo, s15
	s_wait_kmcnt 0x0
	s_wait_alu 0xfffe
	s_mul_u64 s[36:37], s[36:37], s[22:23]
	s_mul_u64 s[22:23], s[40:41], s[22:23]
	s_add_nc_u64 s[26:27], s[36:37], s[26:27]
	s_wait_alu 0xfffe
	s_add_nc_u64 s[20:21], s[22:23], s[20:21]
	s_cbranch_vccnz .LBB0_9
; %bb.6:                                ;   in Loop: Header=BB0_2 Depth=1
	s_mov_b32 s28, s38
	s_branch .LBB0_2
.LBB0_7:                                ;   in Loop: Header=BB0_2 Depth=1
                                        ; implicit-def: $sgpr38_sgpr39
	s_branch .LBB0_4
.LBB0_8:
	s_mov_b64 s[26:27], s[28:29]
	s_branch .LBB0_10
.LBB0_9:
	s_cvt_f32_u32 s2, s33
	s_sub_co_i32 s3, 0, s33
	s_wait_alu 0xfffe
	s_delay_alu instid0(SALU_CYCLE_1) | instskip(NEXT) | instid1(TRANS32_DEP_1)
	v_rcp_iflag_f32_e32 v1, s2
	v_readfirstlane_b32 s2, v1
	s_delay_alu instid0(VALU_DEP_1) | instskip(SKIP_1) | instid1(SALU_CYCLE_2)
	s_mul_f32 s2, s2, 0x4f7ffffe
	s_wait_alu 0xfffe
	s_cvt_u32_f32 s2, s2
	s_wait_alu 0xfffe
	s_delay_alu instid0(SALU_CYCLE_2)
	s_mul_i32 s3, s3, s2
	s_wait_alu 0xfffe
	s_mul_hi_u32 s8, s2, s3
	s_mov_b32 s3, 0
	s_add_co_i32 s2, s2, s8
	s_wait_alu 0xfffe
	s_mul_u64 s[2:3], s[30:31], s[2:3]
	s_wait_alu 0xfffe
	s_mul_i32 s2, s3, s33
	s_add_co_i32 s8, s3, 1
	s_wait_alu 0xfffe
	s_sub_co_i32 s2, ttmp9, s2
	s_wait_alu 0xfffe
	s_sub_co_i32 s9, s2, s33
	s_cmp_ge_u32 s2, s33
	s_cselect_b32 s3, s8, s3
	s_cselect_b32 s2, s9, s2
	s_wait_alu 0xfffe
	s_add_co_i32 s8, s3, 1
	s_cmp_ge_u32 s2, s33
	s_cselect_b32 s22, s8, s3
.LBB0_10:
	v_add_nc_u16 v5, v0, 0x9c
	v_mul_u32_u24_e32 v1, 0x184, v0
	v_add_nc_u16 v11, v0, 0x138
	v_add_nc_u16 v14, v0, 0x1d4
	s_lshl_b64 s[6:7], s[6:7], 3
	v_dual_mov_b32 v13, 0 :: v_dual_and_b32 v2, 0xffff, v5
	v_lshrrev_b32_e32 v1, 16, v1
	v_and_b32_e32 v7, 0xffff, v11
	v_and_b32_e32 v8, 0xffff, v14
	s_delay_alu instid0(VALU_DEP_4)
	v_mul_u32_u24_e32 v2, 0x184, v2
	s_wait_alu 0xfffe
	s_add_nc_u64 s[10:11], s[10:11], s[6:7]
	v_mul_lo_u16 v3, 0xa9, v1
	s_load_b64 s[10:11], s[10:11], 0x0
	s_load_b128 s[0:3], s[0:1], 0x58
	v_lshrrev_b32_e32 v2, 16, v2
	v_mul_lo_u32 v12, s18, v1
	v_sub_nc_u16 v34, v0, v3
	s_mov_b32 s23, 0
	s_lshl_b64 s[8:9], s[26:27], 3
	v_mul_lo_u16 v6, 0xa9, v2
	v_add_nc_u16 v16, v0, 0x270
	v_and_b32_e32 v9, 0xffff, v34
	v_add_nc_u16 v21, v0, 0x3a8
	v_add_nc_u16 v24, v0, 0x4e0
	v_sub_nc_u16 v35, v5, v6
	v_mul_u32_u24_e32 v5, 0x184, v7
	v_mul_u32_u24_e32 v6, 0x184, v8
	v_mad_co_u64_u32 v[3:4], null, s16, v9, 0
	s_delay_alu instid0(VALU_DEP_4) | instskip(NEXT) | instid1(VALU_DEP_4)
	v_and_b32_e32 v15, 0xffff, v35
	v_lshrrev_b32_e32 v36, 16, v5
	s_delay_alu instid0(VALU_DEP_4)
	v_lshrrev_b32_e32 v37, 16, v6
	v_lshlrev_b64_e32 v[7:8], 3, v[12:13]
	s_wait_kmcnt 0x0
	s_wait_alu 0xfffe
	s_mul_u64 s[10:11], s[10:11], s[22:23]
	v_mad_co_u64_u32 v[5:6], null, s16, v15, 0
	s_lshl_b64 s[10:11], s[10:11], 3
	v_mul_lo_u32 v12, s18, v2
	s_add_nc_u64 s[0:1], s[0:1], s[10:11]
	v_and_b32_e32 v18, 0xffff, v16
	s_add_nc_u64 s[0:1], s[0:1], s[8:9]
	v_add_nc_u16 v26, v0, 0x57c
	s_delay_alu instid0(VALU_DEP_4) | instskip(SKIP_4) | instid1(VALU_DEP_4)
	v_mad_co_u64_u32 v[9:10], null, s17, v9, v[4:5]
	v_mul_lo_u16 v4, 0xa9, v36
	v_mul_lo_u16 v10, 0xa9, v37
	v_add_nc_u16 v52, v0, 0x6b4
	v_add_nc_u16 v32, v0, 0x618
	v_sub_nc_u16 v38, v11, v4
	v_mov_b32_e32 v4, v9
	v_sub_nc_u16 v39, v14, v10
	v_mad_co_u64_u32 v[9:10], null, s17, v15, v[6:7]
	s_delay_alu instid0(VALU_DEP_4) | instskip(NEXT) | instid1(VALU_DEP_4)
	v_and_b32_e32 v14, 0xffff, v38
	v_lshlrev_b64_e32 v[3:4], 3, v[3:4]
	s_delay_alu instid0(VALU_DEP_4) | instskip(NEXT) | instid1(VALU_DEP_3)
	v_and_b32_e32 v17, 0xffff, v39
	v_mad_co_u64_u32 v[10:11], null, s16, v14, 0
	v_mov_b32_e32 v6, v9
	s_delay_alu instid0(VALU_DEP_4) | instskip(SKIP_1) | instid1(VALU_DEP_3)
	v_add_co_u32 v9, vcc_lo, s0, v3
	v_add_co_ci_u32_e32 v15, vcc_lo, s1, v4, vcc_lo
	v_lshlrev_b64_e32 v[3:4], 3, v[5:6]
	s_delay_alu instid0(VALU_DEP_3) | instskip(SKIP_1) | instid1(VALU_DEP_3)
	v_add_co_u32 v5, vcc_lo, v9, v7
	s_wait_alu 0xfffd
	v_add_co_ci_u32_e32 v6, vcc_lo, v15, v8, vcc_lo
	v_lshlrev_b64_e32 v[8:9], 3, v[12:13]
	v_mov_b32_e32 v7, v11
	v_add_co_u32 v3, vcc_lo, s0, v3
	s_wait_alu 0xfffd
	v_add_co_ci_u32_e32 v4, vcc_lo, s1, v4, vcc_lo
	s_delay_alu instid0(VALU_DEP_3)
	v_mad_co_u64_u32 v[11:12], null, s17, v14, v[7:8]
	v_mad_co_u64_u32 v[14:15], null, s16, v17, 0
	v_mul_u32_u24_e32 v7, 0x184, v18
	v_add_co_u32 v3, vcc_lo, v3, v8
	s_wait_alu 0xfffd
	v_add_co_ci_u32_e32 v4, vcc_lo, v4, v9, vcc_lo
	v_lshlrev_b64_e32 v[8:9], 3, v[10:11]
	v_lshrrev_b32_e32 v40, 16, v7
	v_mov_b32_e32 v7, v15
	v_add_nc_u16 v18, v0, 0x30c
	v_mul_lo_u32 v12, s18, v36
	s_delay_alu instid0(VALU_DEP_4) | instskip(NEXT) | instid1(VALU_DEP_4)
	v_mul_lo_u16 v15, 0xa9, v40
	v_mad_co_u64_u32 v[10:11], null, s17, v17, v[7:8]
	s_delay_alu instid0(VALU_DEP_4) | instskip(NEXT) | instid1(VALU_DEP_3)
	v_and_b32_e32 v11, 0xffff, v18
	v_sub_nc_u16 v41, v16, v15
	v_add_co_u32 v16, vcc_lo, s0, v8
	s_delay_alu instid0(VALU_DEP_3)
	v_mul_u32_u24_e32 v11, 0xc1f, v11
	v_mov_b32_e32 v15, v10
	v_lshlrev_b64_e32 v[7:8], 3, v[12:13]
	v_mul_lo_u32 v12, s18, v37
	v_and_b32_e32 v19, 0xffff, v41
	v_lshrrev_b32_e32 v42, 19, v11
	s_wait_alu 0xfffd
	v_add_co_ci_u32_e32 v17, vcc_lo, s1, v9, vcc_lo
	v_lshlrev_b64_e32 v[9:10], 3, v[14:15]
	v_add_co_u32 v7, vcc_lo, v16, v7
	v_mul_lo_u16 v16, 0xa9, v42
	v_mad_co_u64_u32 v[14:15], null, s16, v19, 0
	s_wait_alu 0xfffd
	v_add_co_ci_u32_e32 v8, vcc_lo, v17, v8, vcc_lo
	v_lshlrev_b64_e32 v[11:12], 3, v[12:13]
	v_add_co_u32 v17, vcc_lo, s0, v9
	v_sub_nc_u16 v43, v18, v16
	s_wait_alu 0xfffd
	v_add_co_ci_u32_e32 v20, vcc_lo, s1, v10, vcc_lo
	v_mov_b32_e32 v9, v15
	v_add_co_u32 v10, vcc_lo, v17, v11
	v_and_b32_e32 v18, 0xffff, v43
	s_wait_alu 0xfffd
	v_add_co_ci_u32_e32 v11, vcc_lo, v20, v12, vcc_lo
	s_delay_alu instid0(VALU_DEP_3) | instskip(NEXT) | instid1(VALU_DEP_3)
	v_mad_co_u64_u32 v[15:16], null, s17, v19, v[9:10]
	v_mad_co_u64_u32 v[16:17], null, s16, v18, 0
	v_and_b32_e32 v12, 0xffff, v21
	s_clause 0x3
	global_load_b64 v[5:6], v[5:6], off
	global_load_b64 v[3:4], v[3:4], off
	;; [unrolled: 1-line block ×4, first 2 shown]
	v_add_nc_u16 v20, v0, 0x444
	v_lshlrev_b64_e32 v[14:15], 3, v[14:15]
	v_mov_b32_e32 v11, v17
	v_mul_u32_u24_e32 v12, 0xc1f, v12
	s_delay_alu instid0(VALU_DEP_1) | instskip(SKIP_1) | instid1(VALU_DEP_2)
	v_lshrrev_b32_e32 v44, 19, v12
	v_mul_lo_u32 v12, s18, v40
	v_mul_lo_u16 v19, 0xa9, v44
	s_delay_alu instid0(VALU_DEP_2) | instskip(NEXT) | instid1(VALU_DEP_2)
	v_mad_co_u64_u32 v[17:18], null, s17, v18, v[11:12]
	v_sub_nc_u16 v45, v21, v19
	v_add_co_u32 v21, vcc_lo, s0, v14
	s_delay_alu instid0(VALU_DEP_2) | instskip(NEXT) | instid1(VALU_DEP_4)
	v_and_b32_e32 v23, 0xffff, v45
	v_lshlrev_b64_e32 v[16:17], 3, v[16:17]
	s_delay_alu instid0(VALU_DEP_2) | instskip(SKIP_1) | instid1(VALU_DEP_1)
	v_mad_co_u64_u32 v[18:19], null, s16, v23, 0
	v_and_b32_e32 v22, 0xffff, v20
	v_mul_u32_u24_e32 v11, 0xc1f, v22
	s_wait_alu 0xfffd
	v_add_co_ci_u32_e32 v22, vcc_lo, s1, v15, vcc_lo
	v_lshlrev_b64_e32 v[14:15], 3, v[12:13]
	v_mul_lo_u32 v12, s18, v42
	v_lshrrev_b32_e32 v46, 19, v11
	s_delay_alu instid0(VALU_DEP_3) | instskip(NEXT) | instid1(VALU_DEP_2)
	v_add_co_u32 v14, vcc_lo, v21, v14
	v_mul_lo_u16 v11, 0xa9, v46
	s_wait_alu 0xfffd
	v_add_co_ci_u32_e32 v15, vcc_lo, v22, v15, vcc_lo
	v_add_co_u32 v16, vcc_lo, s0, v16
	s_delay_alu instid0(VALU_DEP_3)
	v_sub_nc_u16 v47, v20, v11
	v_mov_b32_e32 v11, v19
	v_and_b32_e32 v19, 0xffff, v24
	v_lshlrev_b64_e32 v[20:21], 3, v[12:13]
	s_wait_alu 0xfffd
	v_add_co_ci_u32_e32 v17, vcc_lo, s1, v17, vcc_lo
	v_and_b32_e32 v25, 0xffff, v47
	v_mad_co_u64_u32 v[11:12], null, s17, v23, v[11:12]
	v_mul_u32_u24_e32 v12, 0xc1f, v19
	v_add_co_u32 v16, vcc_lo, v16, v20
	s_delay_alu instid0(VALU_DEP_4) | instskip(NEXT) | instid1(VALU_DEP_3)
	v_mad_co_u64_u32 v[22:23], null, s16, v25, 0
	v_lshrrev_b32_e32 v48, 19, v12
	v_mov_b32_e32 v19, v11
	s_wait_alu 0xfffd
	v_add_co_ci_u32_e32 v17, vcc_lo, v17, v21, vcc_lo
	s_delay_alu instid0(VALU_DEP_3) | instskip(SKIP_1) | instid1(VALU_DEP_2)
	v_mul_lo_u16 v20, 0xa9, v48
	v_mov_b32_e32 v11, v23
	v_sub_nc_u16 v49, v24, v20
	s_delay_alu instid0(VALU_DEP_2)
	v_mad_co_u64_u32 v[11:12], null, s17, v25, v[11:12]
	v_and_b32_e32 v20, 0xffff, v26
	v_lshlrev_b64_e32 v[18:19], 3, v[18:19]
	v_mul_lo_u32 v12, s18, v44
	v_and_b32_e32 v27, 0xffff, v49
	v_mov_b32_e32 v23, v11
	v_mul_u32_u24_e32 v11, 0xc1f, v20
	v_add_co_u32 v24, vcc_lo, s0, v18
	s_wait_alu 0xfffd
	v_add_co_ci_u32_e32 v25, vcc_lo, s1, v19, vcc_lo
	v_lshlrev_b64_e32 v[18:19], 3, v[12:13]
	v_mul_lo_u32 v12, s18, v46
	v_lshrrev_b32_e32 v50, 19, v11
	v_lshlrev_b64_e32 v[20:21], 3, v[22:23]
	v_mad_co_u64_u32 v[22:23], null, s16, v27, 0
	v_add_co_u32 v18, vcc_lo, v24, v18
	s_delay_alu instid0(VALU_DEP_4)
	v_mul_lo_u16 v24, 0xa9, v50
	s_wait_alu 0xfffd
	v_add_co_ci_u32_e32 v19, vcc_lo, v25, v19, vcc_lo
	v_lshlrev_b64_e32 v[11:12], 3, v[12:13]
	v_add_co_u32 v25, vcc_lo, s0, v20
	v_sub_nc_u16 v51, v26, v24
	s_wait_alu 0xfffd
	v_add_co_ci_u32_e32 v21, vcc_lo, s1, v21, vcc_lo
	v_dual_mov_b32 v20, v23 :: v_dual_and_b32 v23, 0xffff, v32
	v_add_co_u32 v11, vcc_lo, v25, v11
	v_and_b32_e32 v33, 0xffff, v51
	s_wait_alu 0xfffd
	v_add_co_ci_u32_e32 v12, vcc_lo, v21, v12, vcc_lo
	v_mad_co_u64_u32 v[20:21], null, s17, v27, v[20:21]
	v_mul_u32_u24_e32 v21, 0xc1f, v23
	v_mad_co_u64_u32 v[24:25], null, s16, v33, 0
	s_clause 0x3
	global_load_b64 v[14:15], v[14:15], off
	global_load_b64 v[26:27], v[16:17], off
	;; [unrolled: 1-line block ×4, first 2 shown]
	v_and_b32_e32 v18, 0xffff, v52
	v_lshrrev_b32_e32 v53, 19, v21
	v_mov_b32_e32 v23, v20
	v_add_nc_u16 v20, v0, 0x750
	v_mul_lo_u32 v12, s18, v48
	v_mov_b32_e32 v11, v25
	v_mul_lo_u16 v21, 0xa9, v53
	v_lshlrev_b64_e32 v[16:17], 3, v[22:23]
	v_mul_u32_u24_e32 v22, 0xc1f, v18
	v_and_b32_e32 v23, 0xffff, v20
	s_delay_alu instid0(VALU_DEP_4) | instskip(SKIP_1) | instid1(VALU_DEP_4)
	v_sub_nc_u16 v54, v32, v21
	v_mad_co_u64_u32 v[18:19], null, s17, v33, v[11:12]
	v_lshrrev_b32_e32 v55, 19, v22
	s_delay_alu instid0(VALU_DEP_4) | instskip(NEXT) | instid1(VALU_DEP_4)
	v_mul_u32_u24_e32 v19, 0xc1f, v23
	v_and_b32_e32 v32, 0xffff, v54
	v_lshlrev_b64_e32 v[11:12], 3, v[12:13]
	v_add_co_u32 v21, vcc_lo, s0, v16
	v_mul_lo_u16 v23, 0xa9, v55
	v_lshrrev_b32_e32 v56, 19, v19
	s_wait_alu 0xfffd
	v_add_co_ci_u32_e32 v22, vcc_lo, s1, v17, vcc_lo
	v_mad_co_u64_u32 v[16:17], null, s16, v32, 0
	v_sub_nc_u16 v52, v52, v23
	v_mul_lo_u16 v23, 0xa9, v56
	v_mov_b32_e32 v25, v18
	v_add_co_u32 v18, vcc_lo, v21, v11
	s_wait_alu 0xfffd
	v_add_co_ci_u32_e32 v19, vcc_lo, v22, v12, vcc_lo
	v_mul_lo_u32 v12, s18, v50
	v_sub_nc_u16 v57, v20, v23
	v_and_b32_e32 v58, 0xffff, v52
	v_lshlrev_b64_e32 v[20:21], 3, v[24:25]
	v_mov_b32_e32 v11, v17
	s_delay_alu instid0(VALU_DEP_4) | instskip(NEXT) | instid1(VALU_DEP_4)
	v_and_b32_e32 v59, 0xffff, v57
	v_mad_co_u64_u32 v[22:23], null, s16, v58, 0
	s_delay_alu instid0(VALU_DEP_3) | instskip(SKIP_1) | instid1(VALU_DEP_4)
	v_mad_co_u64_u32 v[24:25], null, s17, v32, v[11:12]
	v_add_co_u32 v25, vcc_lo, s0, v20
	v_mad_co_u64_u32 v[32:33], null, s16, v59, 0
	s_wait_alu 0xfffd
	v_add_co_ci_u32_e32 v60, vcc_lo, s1, v21, vcc_lo
	v_lshlrev_b64_e32 v[20:21], 3, v[12:13]
	v_mul_lo_u32 v12, s18, v53
	v_mov_b32_e32 v11, v23
	v_mov_b32_e32 v17, v24
	s_delay_alu instid0(VALU_DEP_4) | instskip(NEXT) | instid1(VALU_DEP_2)
	v_add_co_u32 v20, vcc_lo, v25, v20
	v_lshlrev_b64_e32 v[16:17], 3, v[16:17]
	s_delay_alu instid0(VALU_DEP_4)
	v_mad_co_u64_u32 v[23:24], null, s17, v58, v[11:12]
	v_mov_b32_e32 v11, v33
	v_lshlrev_b64_e32 v[24:25], 3, v[12:13]
	s_wait_alu 0xfffd
	v_add_co_ci_u32_e32 v21, vcc_lo, v60, v21, vcc_lo
	v_add_co_u32 v58, vcc_lo, s0, v16
	v_mad_co_u64_u32 v[11:12], null, s17, v59, v[11:12]
	v_mul_lo_u32 v12, s18, v55
	s_wait_alu 0xfffd
	v_add_co_ci_u32_e32 v59, vcc_lo, s1, v17, vcc_lo
	v_lshlrev_b64_e32 v[16:17], 3, v[22:23]
	v_add_co_u32 v22, vcc_lo, v58, v24
	v_mov_b32_e32 v33, v11
	s_wait_alu 0xfffd
	v_add_co_ci_u32_e32 v23, vcc_lo, v59, v25, vcc_lo
	v_lshlrev_b64_e32 v[24:25], 3, v[12:13]
	v_mul_lo_u32 v12, s18, v56
	v_lshlrev_b64_e32 v[32:33], 3, v[32:33]
	v_add_co_u32 v16, vcc_lo, s0, v16
	s_wait_alu 0xfffd
	v_add_co_ci_u32_e32 v17, vcc_lo, s1, v17, vcc_lo
	s_delay_alu instid0(VALU_DEP_3)
	v_add_co_u32 v32, vcc_lo, s0, v32
	v_lshlrev_b64_e32 v[11:12], 3, v[12:13]
	s_wait_alu 0xfffd
	v_add_co_ci_u32_e32 v33, vcc_lo, s1, v33, vcc_lo
	v_add_co_u32 v16, vcc_lo, v16, v24
	s_wait_alu 0xfffd
	v_add_co_ci_u32_e32 v17, vcc_lo, v17, v25, vcc_lo
	v_add_co_u32 v11, vcc_lo, v32, v11
	s_wait_alu 0xfffd
	v_add_co_ci_u32_e32 v12, vcc_lo, v33, v12, vcc_lo
	s_clause 0x4
	global_load_b64 v[24:25], v[18:19], off
	global_load_b64 v[20:21], v[20:21], off
	;; [unrolled: 1-line block ×5, first 2 shown]
	v_mul_u32_u24_e32 v16, 0x1556, v0
	v_mul_lo_u16 v17, v34, 12
	v_mul_lo_u16 v34, v35, 12
	v_mad_u16 v35, v38, 12, v36
	v_mad_u16 v36, v39, 12, v37
	v_lshrrev_b32_e32 v19, 16, v16
	v_or_b32_e32 v1, v17, v1
	v_or_b32_e32 v2, v34, v2
	v_mad_u16 v37, v41, 12, v40
	v_mad_u16 v38, v43, 12, v42
	v_mul_lo_u16 v16, v19, 12
	v_mul_u32_u24_e32 v17, 0x60, v19
	v_and_b32_e32 v1, 0xffff, v1
	v_mad_u16 v39, v45, 12, v44
	v_mad_u16 v40, v47, 12, v46
	v_sub_nc_u16 v16, v0, v16
	v_mad_u16 v41, v49, 12, v48
	v_mad_u16 v42, v51, 12, v50
	;; [unrolled: 1-line block ×4, first 2 shown]
	v_and_b32_e32 v16, 0xffff, v16
	v_mad_u16 v45, v57, 12, v56
	v_and_b32_e32 v2, 0xffff, v2
	v_and_b32_e32 v34, 0xffff, v35
	;; [unrolled: 1-line block ×3, first 2 shown]
	v_lshlrev_b32_e32 v18, 3, v16
	v_and_b32_e32 v36, 0xffff, v37
	v_lshl_add_u32 v1, v1, 3, 0
	v_and_b32_e32 v37, 0xffff, v38
	v_and_b32_e32 v38, 0xffff, v39
	v_add3_u32 v17, 0, v17, v18
	v_and_b32_e32 v39, 0xffff, v40
	v_and_b32_e32 v40, 0xffff, v41
	;; [unrolled: 1-line block ×6, first 2 shown]
	v_lshl_add_u32 v2, v2, 3, 0
	v_lshl_add_u32 v34, v34, 3, 0
	s_add_nc_u64 s[0:1], s[24:25], s[6:7]
	v_lshl_add_u32 v35, v35, 3, 0
	v_lshl_add_u32 v36, v36, 3, 0
	s_load_b64 s[0:1], s[0:1], 0x0
	v_lshl_add_u32 v37, v37, 3, 0
	v_lshl_add_u32 v38, v38, 3, 0
	v_lshl_add_u32 v39, v39, 3, 0
	v_lshl_add_u32 v40, v40, 3, 0
	v_lshl_add_u32 v41, v41, 3, 0
	v_lshl_add_u32 v42, v42, 3, 0
	v_lshl_add_u32 v43, v43, 3, 0
	v_lshl_add_u32 v44, v44, 3, 0
	v_mul_u32_u24_e32 v0, 0x1a5, v0
	s_wait_loadcnt 0xc
	ds_store_b64 v1, v[5:6]
	s_wait_loadcnt 0xb
	ds_store_b64 v2, v[3:4]
	;; [unrolled: 2-line block ×13, first 2 shown]
	global_wb scope:SCOPE_SE
	s_wait_dscnt 0x0
	s_wait_kmcnt 0x0
	s_barrier_signal -1
	s_barrier_wait -1
	global_inv scope:SCOPE_SE
	ds_load_2addr_b64 v[20:23], v17 offset1:156
	v_add_nc_u32_e32 v18, 0x800, v17
	v_add_nc_u32_e32 v1, 0x3000, v17
	ds_load_b64 v[14:15], v17 offset:14976
	ds_load_2addr_b64 v[24:27], v18 offset0:56 offset1:212
	ds_load_2addr_b64 v[28:31], v1 offset0:24 offset1:180
	v_add_nc_u32_e32 v2, 0x1c00, v17
	v_lshrrev_b32_e32 v0, 16, v0
	s_mul_u64 s[0:1], s[0:1], s[22:23]
	s_wait_alu 0xfffe
	s_lshl_b64 s[0:1], s[0:1], 3
	s_wait_dscnt 0x3
	v_dual_add_f32 v33, v21, v23 :: v_dual_add_f32 v32, v20, v22
	s_wait_dscnt 0x2
	v_add_f32_e32 v35, v15, v23
	v_sub_f32_e32 v23, v23, v15
	s_wait_dscnt 0x0
	v_dual_sub_f32 v39, v25, v31 :: v_dual_add_f32 v34, v14, v22
	v_sub_f32_e32 v22, v22, v14
	v_add_f32_e32 v36, v30, v24
	v_mul_f32_e32 v42, 0xbf7e222b, v23
	v_mul_f32_e32 v44, 0xbf6f5d39, v23
	s_delay_alu instid0(VALU_DEP_4) | instskip(SKIP_1) | instid1(VALU_DEP_4)
	v_dual_mul_f32 v46, 0xbf29c268, v23 :: v_dual_mul_f32 v47, 0xbf29c268, v22
	v_mul_f32_e32 v43, 0xbf7e222b, v22
	v_fma_f32 v57, 0x3df6dbef, v34, -v42
	v_mul_f32_e32 v45, 0xbf6f5d39, v22
	v_fma_f32 v59, 0xbeb58ec6, v34, -v44
	v_fmac_f32_e32 v44, 0xbeb58ec6, v34
	s_delay_alu instid0(VALU_DEP_4) | instskip(SKIP_1) | instid1(VALU_DEP_3)
	v_dual_fmamk_f32 v62, v35, 0xbf3f9e67, v47 :: v_dual_add_f32 v57, v20, v57
	v_add_nc_u32_e32 v1, 0x1200, v17
	v_dual_add_f32 v44, v20, v44 :: v_dual_add_nc_u32 v9, 0x2400, v17
	s_delay_alu instid0(VALU_DEP_3)
	v_add_f32_e32 v62, v21, v62
	ds_load_2addr_b64 v[5:8], v1 offset0:48 offset1:204
	ds_load_2addr_b64 v[1:4], v2 offset0:40 offset1:196
	;; [unrolled: 1-line block ×3, first 2 shown]
	v_sub_f32_e32 v38, v24, v30
	v_dual_add_f32 v24, v32, v24 :: v_dual_add_f32 v37, v31, v25
	v_dual_mul_f32 v32, 0xbeedf032, v23 :: v_dual_add_f32 v25, v33, v25
	v_mul_f32_e32 v40, 0xbf52af12, v23
	s_delay_alu instid0(VALU_DEP_3) | instskip(SKIP_2) | instid1(VALU_DEP_4)
	v_add_f32_e32 v24, v24, v26
	v_dual_mul_f32 v41, 0xbf52af12, v22 :: v_dual_mul_f32 v48, 0xbf52af12, v39
	v_mul_f32_e32 v23, 0xbe750f2a, v23
	v_fma_f32 v55, 0x3f116cb1, v34, -v40
	v_fmamk_f32 v58, v35, 0x3df6dbef, v43
	v_fma_f32 v43, 0x3df6dbef, v35, -v43
	v_fma_f32 v61, 0xbf3f9e67, v34, -v46
	v_fmac_f32_e32 v46, 0xbf3f9e67, v34
	v_dual_mul_f32 v50, 0xbf6f5d39, v39 :: v_dual_mul_f32 v51, 0xbf6f5d39, v38
	s_wait_dscnt 0x2
	v_dual_add_f32 v24, v24, v5 :: v_dual_add_f32 v43, v21, v43
	v_fma_f32 v53, 0x3f62ad3f, v34, -v32
	v_fmac_f32_e32 v32, 0x3f62ad3f, v34
	v_add_f32_e32 v46, v20, v46
	s_delay_alu instid0(VALU_DEP_4)
	v_add_f32_e32 v24, v24, v7
	v_fma_f32 v47, 0xbf3f9e67, v35, -v47
	v_dual_add_f32 v53, v20, v53 :: v_dual_fmamk_f32 v66, v37, 0xbeb58ec6, v51
	v_add_f32_e32 v61, v20, v61
	s_wait_dscnt 0x1
	v_add_f32_e32 v24, v24, v1
	v_add_f32_e32 v32, v20, v32
	;; [unrolled: 1-line block ×4, first 2 shown]
	v_fma_f32 v65, 0xbeb58ec6, v36, -v50
	v_dual_add_f32 v24, v24, v3 :: v_dual_mul_f32 v33, 0xbeedf032, v22
	v_mul_f32_e32 v22, 0xbe750f2a, v22
	v_fma_f32 v63, 0xbf788fa5, v34, -v23
	s_wait_dscnt 0x0
	s_delay_alu instid0(VALU_DEP_3) | instskip(SKIP_2) | instid1(VALU_DEP_3)
	v_dual_fmac_f32 v23, 0xbf788fa5, v34 :: v_dual_add_f32 v24, v24, v9
	v_dual_add_f32 v25, v25, v27 :: v_dual_fmamk_f32 v54, v35, 0x3f62ad3f, v33
	v_mul_f32_e32 v52, 0xbe750f2a, v39
	v_dual_mul_f32 v49, 0xbf52af12, v38 :: v_dual_add_f32 v24, v24, v11
	s_delay_alu instid0(VALU_DEP_3) | instskip(SKIP_2) | instid1(VALU_DEP_3)
	v_dual_add_f32 v25, v25, v6 :: v_dual_fmamk_f32 v60, v35, 0xbeb58ec6, v45
	v_fma_f32 v33, 0x3f62ad3f, v35, -v33
	v_fmamk_f32 v56, v35, 0x3f116cb1, v41
	v_dual_fmac_f32 v40, 0x3f116cb1, v34 :: v_dual_add_f32 v25, v25, v8
	v_fma_f32 v41, 0x3f116cb1, v35, -v41
	v_fmac_f32_e32 v42, 0x3df6dbef, v34
	v_fmamk_f32 v64, v35, 0xbf788fa5, v22
	v_fma_f32 v45, 0xbeb58ec6, v35, -v45
	v_add_f32_e32 v25, v25, v2
	v_fma_f32 v22, 0xbf788fa5, v35, -v22
	v_fma_f32 v34, 0x3f116cb1, v36, -v48
	v_dual_fmamk_f32 v35, v37, 0x3f116cb1, v49 :: v_dual_fmac_f32 v48, 0x3f116cb1, v36
	s_delay_alu instid0(VALU_DEP_4) | instskip(SKIP_3) | instid1(VALU_DEP_4)
	v_add_f32_e32 v25, v25, v4
	v_dual_add_f32 v40, v20, v40 :: v_dual_add_f32 v41, v21, v41
	v_add_f32_e32 v42, v20, v42
	v_dual_add_f32 v63, v20, v63 :: v_dual_add_f32 v64, v21, v64
	v_dual_add_f32 v25, v25, v10 :: v_dual_add_f32 v20, v20, v23
	v_fma_f32 v49, 0x3f116cb1, v37, -v49
	v_dual_fmac_f32 v50, 0xbeb58ec6, v36 :: v_dual_add_f32 v45, v21, v45
	s_delay_alu instid0(VALU_DEP_3) | instskip(SKIP_4) | instid1(VALU_DEP_4)
	v_add_f32_e32 v25, v25, v12
	v_add_f32_e32 v23, v24, v28
	;; [unrolled: 1-line block ×4, first 2 shown]
	v_fma_f32 v51, 0xbeb58ec6, v37, -v51
	v_dual_add_f32 v24, v25, v29 :: v_dual_add_f32 v23, v23, v30
	v_add_f32_e32 v54, v21, v54
	v_add_f32_e32 v58, v21, v58
	;; [unrolled: 1-line block ×3, first 2 shown]
	s_delay_alu instid0(VALU_DEP_4) | instskip(SKIP_2) | instid1(VALU_DEP_3)
	v_add_f32_e32 v24, v24, v31
	v_add_f32_e32 v47, v21, v47
	v_dual_add_f32 v21, v21, v22 :: v_dual_add_f32 v30, v48, v32
	v_dual_add_f32 v22, v34, v53 :: v_dual_add_f32 v15, v24, v15
	v_mul_f32_e32 v24, 0xbe750f2a, v38
	v_dual_add_f32 v34, v50, v40 :: v_dual_add_f32 v31, v49, v33
	v_dual_add_f32 v14, v23, v14 :: v_dual_add_f32 v23, v66, v56
	v_dual_mul_f32 v40, 0x3f29c268, v39 :: v_dual_add_f32 v25, v35, v54
	v_add_f32_e32 v32, v65, v55
	v_fma_f32 v33, 0xbf788fa5, v36, -v52
	v_dual_add_f32 v35, v51, v41 :: v_dual_fmac_f32 v52, 0xbf788fa5, v36
	v_fmamk_f32 v41, v37, 0xbf788fa5, v24
	v_fma_f32 v24, 0xbf788fa5, v37, -v24
	v_fma_f32 v48, 0xbf3f9e67, v36, -v40
	v_mul_f32_e32 v49, 0x3f29c268, v38
	v_dual_add_f32 v33, v33, v57 :: v_dual_add_f32 v42, v52, v42
	s_delay_alu instid0(VALU_DEP_4) | instskip(NEXT) | instid1(VALU_DEP_3)
	v_add_f32_e32 v24, v24, v43
	v_dual_add_f32 v43, v48, v59 :: v_dual_fmamk_f32 v50, v37, 0xbf3f9e67, v49
	v_dual_add_f32 v41, v41, v58 :: v_dual_mul_f32 v48, 0x3f7e222b, v39
	global_wb scope:SCOPE_SE
	s_barrier_signal -1
	v_add_f32_e32 v50, v50, v60
	v_fma_f32 v49, 0xbf3f9e67, v37, -v49
	v_fmac_f32_e32 v40, 0xbf3f9e67, v36
	v_fma_f32 v52, 0x3df6dbef, v36, -v48
	s_barrier_wait -1
	global_inv scope:SCOPE_SE
	v_add_f32_e32 v45, v49, v45
	v_dual_mul_f32 v51, 0x3f7e222b, v38 :: v_dual_add_f32 v40, v40, v44
	s_delay_alu instid0(VALU_DEP_1) | instskip(SKIP_3) | instid1(VALU_DEP_4)
	v_dual_add_f32 v49, v52, v61 :: v_dual_fmamk_f32 v44, v37, 0x3df6dbef, v51
	v_mul_f32_e32 v39, 0x3eedf032, v39
	v_fma_f32 v51, 0x3df6dbef, v37, -v51
	v_fmac_f32_e32 v48, 0x3df6dbef, v36
	v_add_f32_e32 v44, v44, v62
	s_delay_alu instid0(VALU_DEP_4) | instskip(NEXT) | instid1(VALU_DEP_4)
	v_fma_f32 v52, 0x3f62ad3f, v36, -v39
	v_dual_add_f32 v47, v51, v47 :: v_dual_mul_f32 v38, 0x3eedf032, v38
	v_fmac_f32_e32 v39, 0x3f62ad3f, v36
	s_delay_alu instid0(VALU_DEP_3) | instskip(NEXT) | instid1(VALU_DEP_3)
	v_add_f32_e32 v51, v52, v63
	v_dual_add_f32 v46, v48, v46 :: v_dual_fmamk_f32 v53, v37, 0x3f62ad3f, v38
	v_sub_f32_e32 v48, v27, v29
	v_add_f32_e32 v52, v28, v26
	v_sub_f32_e32 v26, v26, v28
	v_fma_f32 v28, 0x3f62ad3f, v37, -v38
	v_add_f32_e32 v53, v53, v64
	v_dual_mul_f32 v54, 0xbf7e222b, v48 :: v_dual_add_f32 v27, v29, v27
	s_delay_alu instid0(VALU_DEP_3) | instskip(SKIP_1) | instid1(VALU_DEP_3)
	v_dual_add_f32 v20, v39, v20 :: v_dual_add_f32 v21, v28, v21
	v_mul_f32_e32 v29, 0xbf7e222b, v26
	v_fma_f32 v36, 0x3df6dbef, v52, -v54
	v_dual_mul_f32 v28, 0xbe750f2a, v48 :: v_dual_mul_f32 v37, 0xbe750f2a, v26
	s_delay_alu instid0(VALU_DEP_2) | instskip(NEXT) | instid1(VALU_DEP_4)
	v_add_f32_e32 v22, v36, v22
	v_fmamk_f32 v36, v27, 0x3df6dbef, v29
	v_fmac_f32_e32 v54, 0x3df6dbef, v52
	v_fma_f32 v29, 0x3df6dbef, v27, -v29
	v_fma_f32 v38, 0xbf788fa5, v52, -v28
	s_delay_alu instid0(VALU_DEP_4) | instskip(NEXT) | instid1(VALU_DEP_3)
	v_dual_fmac_f32 v28, 0xbf788fa5, v52 :: v_dual_add_f32 v25, v36, v25
	v_dual_add_f32 v30, v54, v30 :: v_dual_add_f32 v29, v29, v31
	v_fmamk_f32 v31, v27, 0xbf788fa5, v37
	v_mul_f32_e32 v36, 0x3f6f5d39, v48
	v_fma_f32 v37, 0xbf788fa5, v27, -v37
	v_add_f32_e32 v32, v38, v32
	s_delay_alu instid0(VALU_DEP_4) | instskip(SKIP_3) | instid1(VALU_DEP_3)
	v_dual_add_f32 v28, v28, v34 :: v_dual_add_f32 v23, v31, v23
	v_mul_f32_e32 v31, 0x3f6f5d39, v26
	v_fma_f32 v38, 0xbeb58ec6, v52, -v36
	v_dual_add_f32 v34, v37, v35 :: v_dual_mul_f32 v35, 0x3eedf032, v48
	v_fmamk_f32 v37, v27, 0xbeb58ec6, v31
	s_delay_alu instid0(VALU_DEP_3) | instskip(SKIP_1) | instid1(VALU_DEP_4)
	v_add_f32_e32 v33, v38, v33
	v_fma_f32 v31, 0xbeb58ec6, v27, -v31
	v_fma_f32 v38, 0x3f62ad3f, v52, -v35
	v_fmac_f32_e32 v36, 0xbeb58ec6, v52
	v_mul_f32_e32 v39, 0x3eedf032, v26
	s_delay_alu instid0(VALU_DEP_4) | instskip(NEXT) | instid1(VALU_DEP_3)
	v_dual_add_f32 v37, v37, v41 :: v_dual_add_f32 v24, v31, v24
	v_dual_add_f32 v31, v38, v43 :: v_dual_add_f32 v36, v36, v42
	s_delay_alu instid0(VALU_DEP_3) | instskip(SKIP_2) | instid1(VALU_DEP_3)
	v_fmamk_f32 v41, v27, 0x3f62ad3f, v39
	v_mul_f32_e32 v38, 0xbf52af12, v48
	v_fma_f32 v39, 0x3f62ad3f, v27, -v39
	v_add_f32_e32 v41, v41, v50
	s_delay_alu instid0(VALU_DEP_3) | instskip(NEXT) | instid1(VALU_DEP_3)
	v_fma_f32 v43, 0x3f116cb1, v52, -v38
	v_dual_add_f32 v39, v39, v45 :: v_dual_fmac_f32 v38, 0x3f116cb1, v52
	v_fmac_f32_e32 v35, 0x3f62ad3f, v52
	s_delay_alu instid0(VALU_DEP_2) | instskip(NEXT) | instid1(VALU_DEP_2)
	v_dual_mul_f32 v45, 0xbf29c268, v48 :: v_dual_add_f32 v38, v38, v46
	v_dual_mul_f32 v42, 0xbf52af12, v26 :: v_dual_add_f32 v35, v35, v40
	v_sub_f32_e32 v46, v6, v12
	v_mul_f32_e32 v26, 0xbf29c268, v26
	s_delay_alu instid0(VALU_DEP_3) | instskip(SKIP_1) | instid1(VALU_DEP_3)
	v_fmamk_f32 v40, v27, 0x3f116cb1, v42
	v_fma_f32 v42, 0x3f116cb1, v27, -v42
	v_fmamk_f32 v48, v27, 0xbf3f9e67, v26
	s_delay_alu instid0(VALU_DEP_2)
	v_dual_add_f32 v42, v42, v47 :: v_dual_add_f32 v47, v11, v5
	v_sub_f32_e32 v5, v5, v11
	v_dual_add_f32 v43, v43, v49 :: v_dual_add_f32 v40, v40, v44
	v_mul_f32_e32 v49, 0xbf6f5d39, v46
	v_fma_f32 v44, 0xbf3f9e67, v52, -v45
	v_fmac_f32_e32 v45, 0xbf3f9e67, v52
	v_fma_f32 v11, 0xbf3f9e67, v27, -v26
	v_add_f32_e32 v6, v12, v6
	v_fma_f32 v26, 0xbeb58ec6, v47, -v49
	v_fmac_f32_e32 v49, 0xbeb58ec6, v47
	v_mul_f32_e32 v12, 0xbf6f5d39, v5
	v_dual_add_f32 v44, v44, v51 :: v_dual_add_f32 v11, v11, v21
	s_delay_alu instid0(VALU_DEP_4) | instskip(SKIP_1) | instid1(VALU_DEP_4)
	v_dual_add_f32 v48, v48, v53 :: v_dual_add_f32 v21, v26, v22
	v_dual_add_f32 v20, v45, v20 :: v_dual_mul_f32 v27, 0x3f29c268, v5
	v_fmamk_f32 v26, v6, 0xbeb58ec6, v12
	v_fma_f32 v12, 0xbeb58ec6, v6, -v12
	s_delay_alu instid0(VALU_DEP_1) | instskip(SKIP_1) | instid1(VALU_DEP_2)
	v_dual_add_f32 v12, v12, v29 :: v_dual_fmamk_f32 v29, v6, 0xbf3f9e67, v27
	v_fma_f32 v27, 0xbf3f9e67, v6, -v27
	v_add_f32_e32 v23, v29, v23
	s_delay_alu instid0(VALU_DEP_2) | instskip(SKIP_2) | instid1(VALU_DEP_2)
	v_add_f32_e32 v27, v27, v34
	v_dual_mul_f32 v22, 0x3f29c268, v46 :: v_dual_add_f32 v25, v26, v25
	v_dual_add_f32 v26, v49, v30 :: v_dual_mul_f32 v29, 0x3eedf032, v5
	v_fma_f32 v45, 0xbf3f9e67, v47, -v22
	v_fmac_f32_e32 v22, 0xbf3f9e67, v47
	s_delay_alu instid0(VALU_DEP_3) | instskip(SKIP_1) | instid1(VALU_DEP_4)
	v_fmamk_f32 v34, v6, 0x3f62ad3f, v29
	v_fma_f32 v29, 0x3f62ad3f, v6, -v29
	v_add_f32_e32 v30, v45, v32
	v_mul_f32_e32 v32, 0x3eedf032, v46
	v_add_f32_e32 v22, v22, v28
	v_add_f32_e32 v34, v34, v37
	v_dual_mul_f32 v37, 0xbf7e222b, v5 :: v_dual_add_f32 v24, v29, v24
	s_delay_alu instid0(VALU_DEP_4) | instskip(NEXT) | instid1(VALU_DEP_1)
	v_fma_f32 v45, 0x3f62ad3f, v47, -v32
	v_dual_add_f32 v33, v45, v33 :: v_dual_fmac_f32 v32, 0x3f62ad3f, v47
	s_delay_alu instid0(VALU_DEP_1) | instskip(NEXT) | instid1(VALU_DEP_4)
	v_add_f32_e32 v32, v32, v36
	v_fmamk_f32 v36, v6, 0x3df6dbef, v37
	v_fma_f32 v37, 0x3df6dbef, v6, -v37
	v_mul_f32_e32 v28, 0xbf7e222b, v46
	s_delay_alu instid0(VALU_DEP_3) | instskip(NEXT) | instid1(VALU_DEP_3)
	v_dual_add_f32 v36, v36, v41 :: v_dual_mul_f32 v41, 0x3f52af12, v46
	v_add_f32_e32 v37, v37, v39
	s_delay_alu instid0(VALU_DEP_3) | instskip(SKIP_1) | instid1(VALU_DEP_2)
	v_fma_f32 v45, 0x3df6dbef, v47, -v28
	v_fmac_f32_e32 v28, 0x3df6dbef, v47
	v_add_f32_e32 v29, v45, v31
	v_mul_f32_e32 v31, 0x3e750f2a, v46
	s_delay_alu instid0(VALU_DEP_3) | instskip(SKIP_1) | instid1(VALU_DEP_3)
	v_dual_mul_f32 v45, 0x3e750f2a, v5 :: v_dual_add_f32 v28, v28, v35
	v_mul_f32_e32 v5, 0x3f52af12, v5
	v_fma_f32 v49, 0xbf788fa5, v47, -v31
	s_delay_alu instid0(VALU_DEP_3) | instskip(SKIP_1) | instid1(VALU_DEP_3)
	v_fmamk_f32 v35, v6, 0xbf788fa5, v45
	v_fmac_f32_e32 v31, 0xbf788fa5, v47
	v_add_f32_e32 v39, v49, v43
	s_delay_alu instid0(VALU_DEP_3) | instskip(SKIP_4) | instid1(VALU_DEP_4)
	v_add_f32_e32 v35, v35, v40
	v_fma_f32 v40, 0xbf788fa5, v6, -v45
	v_fma_f32 v43, 0x3f116cb1, v47, -v41
	v_add_f32_e32 v31, v31, v38
	v_dual_sub_f32 v38, v8, v10 :: v_dual_fmamk_f32 v45, v6, 0x3f116cb1, v5
	v_add_f32_e32 v40, v40, v42
	s_delay_alu instid0(VALU_DEP_4) | instskip(NEXT) | instid1(VALU_DEP_3)
	v_dual_add_f32 v42, v43, v44 :: v_dual_fmac_f32 v41, 0x3f116cb1, v47
	v_dual_add_f32 v43, v9, v7 :: v_dual_mul_f32 v44, 0xbf29c268, v38
	v_dual_sub_f32 v7, v7, v9 :: v_dual_add_f32 v8, v10, v8
	v_fma_f32 v5, 0x3f116cb1, v6, -v5
	s_delay_alu instid0(VALU_DEP_4) | instskip(NEXT) | instid1(VALU_DEP_4)
	v_add_f32_e32 v10, v41, v20
	v_fma_f32 v6, 0xbf3f9e67, v43, -v44
	s_delay_alu instid0(VALU_DEP_4) | instskip(SKIP_2) | instid1(VALU_DEP_4)
	v_mul_f32_e32 v9, 0xbf29c268, v7
	v_add_f32_e32 v45, v45, v48
	v_add_f32_e32 v5, v5, v11
	v_dual_mul_f32 v11, 0x3f7e222b, v38 :: v_dual_add_f32 v6, v6, v21
	s_delay_alu instid0(VALU_DEP_4) | instskip(SKIP_1) | instid1(VALU_DEP_3)
	v_fmamk_f32 v20, v8, 0xbf3f9e67, v9
	v_fma_f32 v9, 0xbf3f9e67, v8, -v9
	v_fma_f32 v41, 0x3df6dbef, v43, -v11
	v_fmac_f32_e32 v11, 0x3df6dbef, v43
	s_delay_alu instid0(VALU_DEP_3) | instskip(SKIP_1) | instid1(VALU_DEP_3)
	v_dual_fmac_f32 v44, 0xbf3f9e67, v43 :: v_dual_add_f32 v9, v9, v12
	v_dual_mul_f32 v21, 0x3f7e222b, v7 :: v_dual_add_f32 v20, v20, v25
	v_add_f32_e32 v11, v11, v22
	s_delay_alu instid0(VALU_DEP_3) | instskip(SKIP_1) | instid1(VALU_DEP_4)
	v_add_f32_e32 v25, v44, v26
	v_add_f32_e32 v26, v41, v30
	v_fmamk_f32 v12, v8, 0x3df6dbef, v21
	v_fma_f32 v21, 0x3df6dbef, v8, -v21
	s_delay_alu instid0(VALU_DEP_1) | instskip(NEXT) | instid1(VALU_DEP_3)
	v_dual_mul_f32 v30, 0xbf52af12, v38 :: v_dual_add_f32 v21, v21, v27
	v_add_f32_e32 v12, v12, v23
	v_mul_f32_e32 v23, 0xbf52af12, v7
	s_delay_alu instid0(VALU_DEP_3) | instskip(NEXT) | instid1(VALU_DEP_2)
	v_fma_f32 v41, 0x3f116cb1, v43, -v30
	v_fmamk_f32 v27, v8, 0x3f116cb1, v23
	v_fma_f32 v23, 0x3f116cb1, v8, -v23
	s_delay_alu instid0(VALU_DEP_3) | instskip(NEXT) | instid1(VALU_DEP_2)
	v_dual_mul_f32 v22, 0x3e750f2a, v38 :: v_dual_add_f32 v33, v41, v33
	v_dual_fmac_f32 v30, 0x3f116cb1, v43 :: v_dual_add_f32 v23, v23, v24
	s_delay_alu instid0(VALU_DEP_2) | instskip(SKIP_1) | instid1(VALU_DEP_3)
	v_fma_f32 v41, 0xbf788fa5, v43, -v22
	v_fmac_f32_e32 v22, 0xbf788fa5, v43
	v_add_f32_e32 v30, v30, v32
	s_delay_alu instid0(VALU_DEP_3) | instskip(SKIP_1) | instid1(VALU_DEP_4)
	v_dual_add_f32 v24, v41, v29 :: v_dual_mul_f32 v29, 0x3eedf032, v38
	v_dual_add_f32 v27, v27, v34 :: v_dual_mul_f32 v34, 0x3e750f2a, v7
	v_dual_mul_f32 v41, 0x3eedf032, v7 :: v_dual_add_f32 v28, v22, v28
	s_delay_alu instid0(VALU_DEP_3) | instskip(SKIP_1) | instid1(VALU_DEP_1)
	v_fma_f32 v44, 0x3f62ad3f, v43, -v29
	v_fmac_f32_e32 v29, 0x3f62ad3f, v43
	v_dual_fmamk_f32 v22, v8, 0x3f62ad3f, v41 :: v_dual_add_f32 v29, v29, v31
	v_dual_sub_f32 v31, v2, v4 :: v_dual_fmamk_f32 v32, v8, 0xbf788fa5, v34
	s_delay_alu instid0(VALU_DEP_2) | instskip(SKIP_4) | instid1(VALU_DEP_4)
	v_add_f32_e32 v35, v22, v35
	v_fma_f32 v34, 0xbf788fa5, v8, -v34
	v_fma_f32 v22, 0x3f62ad3f, v8, -v41
	v_add_f32_e32 v41, v3, v1
	v_dual_sub_f32 v3, v1, v3 :: v_dual_add_f32 v32, v32, v36
	v_dual_add_f32 v34, v34, v37 :: v_dual_mul_f32 v37, 0xbf6f5d39, v38
	s_delay_alu instid0(VALU_DEP_4) | instskip(SKIP_1) | instid1(VALU_DEP_3)
	v_add_f32_e32 v40, v22, v40
	v_add_f32_e32 v36, v44, v39
	v_fma_f32 v38, 0xbeb58ec6, v43, -v37
	s_delay_alu instid0(VALU_DEP_1) | instskip(NEXT) | instid1(VALU_DEP_1)
	v_dual_mul_f32 v7, 0xbf6f5d39, v7 :: v_dual_add_f32 v38, v38, v42
	v_fma_f32 v1, 0xbeb58ec6, v8, -v7
	v_add_f32_e32 v42, v4, v2
	v_mul_f32_e32 v2, 0xbe750f2a, v3
	v_fmamk_f32 v39, v8, 0xbeb58ec6, v7
	v_mul_f32_e32 v8, 0x3eedf032, v31
	s_delay_alu instid0(VALU_DEP_3) | instskip(SKIP_3) | instid1(VALU_DEP_1)
	v_fmamk_f32 v4, v42, 0xbf788fa5, v2
	v_fmac_f32_e32 v37, 0xbeb58ec6, v43
	v_add_f32_e32 v43, v1, v5
	v_fma_f32 v5, 0xbf788fa5, v42, -v2
	v_dual_add_f32 v5, v5, v9 :: v_dual_add_f32 v2, v4, v20
	s_delay_alu instid0(VALU_DEP_4) | instskip(NEXT) | instid1(VALU_DEP_1)
	v_dual_mul_f32 v22, 0xbe750f2a, v31 :: v_dual_add_f32 v37, v37, v10
	v_fma_f32 v7, 0xbf788fa5, v41, -v22
	s_delay_alu instid0(VALU_DEP_1) | instskip(SKIP_3) | instid1(VALU_DEP_3)
	v_add_f32_e32 v1, v7, v6
	v_fma_f32 v6, 0x3f62ad3f, v41, -v8
	v_mul_f32_e32 v7, 0x3eedf032, v3
	v_fmac_f32_e32 v8, 0x3f62ad3f, v41
	v_add_f32_e32 v6, v6, v26
	s_delay_alu instid0(VALU_DEP_3) | instskip(SKIP_3) | instid1(VALU_DEP_4)
	v_fmamk_f32 v9, v42, 0x3f62ad3f, v7
	v_fmac_f32_e32 v22, 0xbf788fa5, v41
	v_fma_f32 v10, 0x3f62ad3f, v42, -v7
	v_mul_f32_e32 v20, 0xbf29c268, v31
	v_dual_mul_f32 v26, 0x3f52af12, v3 :: v_dual_add_f32 v7, v9, v12
	v_mul_f32_e32 v12, 0xbf29c268, v3
	v_add_f32_e32 v4, v22, v25
	v_dual_add_f32 v8, v8, v11 :: v_dual_add_f32 v9, v10, v21
	v_fma_f32 v11, 0xbf3f9e67, v41, -v20
	s_delay_alu instid0(VALU_DEP_4) | instskip(SKIP_3) | instid1(VALU_DEP_4)
	v_fmamk_f32 v21, v42, 0xbf3f9e67, v12
	v_mul_f32_e32 v25, 0x3f52af12, v31
	v_fmac_f32_e32 v20, 0xbf3f9e67, v41
	v_fma_f32 v12, 0xbf3f9e67, v42, -v12
	v_dual_add_f32 v10, v11, v33 :: v_dual_add_f32 v11, v21, v27
	s_delay_alu instid0(VALU_DEP_4) | instskip(NEXT) | instid1(VALU_DEP_4)
	v_fma_f32 v22, 0x3f116cb1, v41, -v25
	v_add_f32_e32 v20, v20, v30
	s_delay_alu instid0(VALU_DEP_4) | instskip(SKIP_3) | instid1(VALU_DEP_3)
	v_add_f32_e32 v21, v12, v23
	v_mul_f32_e32 v12, 0xbf6f5d39, v31
	v_dual_mul_f32 v30, 0xbf6f5d39, v3 :: v_dual_add_f32 v39, v39, v45
	v_add_f32_e32 v22, v22, v24
	v_fma_f32 v27, 0xbeb58ec6, v41, -v12
	v_fmac_f32_e32 v25, 0x3f116cb1, v41
	s_delay_alu instid0(VALU_DEP_4) | instskip(SKIP_2) | instid1(VALU_DEP_4)
	v_fmamk_f32 v33, v42, 0xbeb58ec6, v30
	v_fmac_f32_e32 v12, 0xbeb58ec6, v41
	v_fma_f32 v30, 0xbeb58ec6, v42, -v30
	v_dual_mul_f32 v3, 0x3f7e222b, v3 :: v_dual_add_f32 v24, v25, v28
	s_delay_alu instid0(VALU_DEP_2) | instskip(SKIP_2) | instid1(VALU_DEP_2)
	v_dual_add_f32 v28, v12, v29 :: v_dual_add_f32 v29, v30, v40
	v_fmamk_f32 v23, v42, 0x3f116cb1, v26
	v_fma_f32 v26, 0x3f116cb1, v42, -v26
	v_add_f32_e32 v23, v23, v32
	v_mul_lo_u16 v32, v19, 20
	s_delay_alu instid0(VALU_DEP_3) | instskip(SKIP_2) | instid1(VALU_DEP_4)
	v_dual_add_f32 v25, v26, v34 :: v_dual_add_f32 v26, v27, v36
	v_add_f32_e32 v27, v33, v35
	v_mul_f32_e32 v33, 0x3f7e222b, v31
	v_lshrrev_b16 v12, 8, v32
	s_delay_alu instid0(VALU_DEP_2)
	v_fma_f32 v30, 0x3df6dbef, v41, -v33
	v_fmac_f32_e32 v33, 0x3df6dbef, v41
	v_fmamk_f32 v31, v42, 0x3df6dbef, v3
	v_fma_f32 v3, 0x3df6dbef, v42, -v3
	v_mul_lo_u16 v12, v12, 13
	v_add_f32_e32 v30, v30, v38
	s_delay_alu instid0(VALU_DEP_4) | instskip(NEXT) | instid1(VALU_DEP_4)
	v_dual_add_f32 v32, v33, v37 :: v_dual_add_f32 v31, v31, v39
	v_add_f32_e32 v33, v3, v43
	s_delay_alu instid0(VALU_DEP_4)
	v_sub_nc_u16 v3, v19, v12
	v_mad_u32_u24 v12, 0x480, v19, v17
	ds_store_2addr_b64 v12, v[14:15], v[1:2] offset1:12
	ds_store_2addr_b64 v12, v[6:7], v[10:11] offset0:24 offset1:36
	ds_store_2addr_b64 v12, v[22:23], v[26:27] offset0:48 offset1:60
	v_and_b32_e32 v3, 0xff, v3
	ds_store_2addr_b64 v12, v[30:31], v[32:33] offset0:72 offset1:84
	ds_store_2addr_b64 v12, v[28:29], v[24:25] offset0:96 offset1:108
	ds_store_2addr_b64 v12, v[20:21], v[8:9] offset0:120 offset1:132
	ds_store_b64 v12, v[4:5] offset:1152
	global_wb scope:SCOPE_SE
	s_wait_dscnt 0x0
	s_barrier_signal -1
	s_barrier_wait -1
	v_mul_u32_u24_e32 v1, 12, v3
	global_inv scope:SCOPE_SE
	v_add_nc_u32_e32 v12, 0x1800, v17
	v_lshlrev_b32_e32 v1, 3, v1
	s_clause 0x5
	global_load_b128 v[4:7], v1, s[4:5]
	global_load_b128 v[8:11], v1, s[4:5] offset:16
	global_load_b128 v[19:22], v1, s[4:5] offset:32
	;; [unrolled: 1-line block ×5, first 2 shown]
	ds_load_2addr_b64 v[35:38], v17 offset1:156
	ds_load_2addr_b64 v[39:42], v18 offset0:56 offset1:212
	v_add_nc_u32_e32 v1, 0x1000, v17
	ds_load_2addr_b32 v[1:2], v1 offset0:224 offset1:225
	ds_load_2addr_b64 v[43:46], v12 offset0:12 offset1:168
	v_add_nc_u32_e32 v12, 0x2000, v17
	v_add_nc_u32_e32 v14, 0x2a00, v17
	ds_load_2addr_b64 v[47:50], v12 offset0:68 offset1:224
	ds_load_2addr_b64 v[51:54], v14 offset0:60 offset1:216
	s_lshl_b64 s[4:5], s[20:21], 3
	s_delay_alu instid0(SALU_CYCLE_1)
	s_add_nc_u64 s[2:3], s[2:3], s[4:5]
	s_wait_alu 0xfffe
	s_add_nc_u64 s[0:1], s[0:1], s[2:3]
	s_mul_i32 s2, s14, 13
	s_wait_loadcnt_dscnt 0x505
	v_mul_f32_e32 v12, v5, v38
	s_wait_dscnt 0x4
	v_dual_mul_f32 v14, v5, v37 :: v_dual_mul_f32 v5, v7, v40
	s_wait_loadcnt 0x4
	v_mul_f32_e32 v18, v9, v41
	v_add_nc_u32_e32 v15, 0x3400, v17
	v_fma_f32 v12, v4, v37, -v12
	v_fmac_f32_e32 v14, v4, v38
	v_fma_f32 v17, v6, v39, -v5
	s_wait_dscnt 0x3
	v_dual_mul_f32 v4, v2, v11 :: v_dual_mul_f32 v11, v11, v1
	s_wait_loadcnt_dscnt 0x302
	v_mul_f32_e32 v5, v44, v20
	v_fmac_f32_e32 v18, v8, v42
	ds_load_2addr_b64 v[55:58], v15 offset0:52 offset1:208
	v_mul_f32_e32 v15, v7, v39
	v_mul_f32_e32 v7, v9, v42
	v_fma_f32 v9, v43, v19, -v5
	s_delay_alu instid0(VALU_DEP_2)
	v_fma_f32 v37, v8, v41, -v7
	v_mul_f32_e32 v8, v43, v20
	v_fmac_f32_e32 v15, v6, v40
	v_fma_f32 v20, v10, v1, -v4
	v_mul_f32_e32 v1, v46, v22
	v_mul_f32_e32 v4, v45, v22
	v_dual_fmac_f32 v11, v2, v10 :: v_dual_add_f32 v2, v12, v35
	v_add_f32_e32 v6, v14, v36
	v_fmac_f32_e32 v8, v44, v19
	s_delay_alu instid0(VALU_DEP_4)
	v_fmac_f32_e32 v4, v46, v21
	s_wait_loadcnt_dscnt 0x101
	v_mul_f32_e32 v22, v51, v28
	v_add_f32_e32 v2, v2, v17
	v_add_f32_e32 v10, v6, v15
	v_mul_f32_e32 v6, v47, v24
	v_fma_f32 v5, v45, v21, -v1
	s_delay_alu instid0(VALU_DEP_4) | instskip(SKIP_1) | instid1(VALU_DEP_4)
	v_dual_mul_f32 v1, v48, v24 :: v_dual_add_f32 v2, v2, v37
	v_fmac_f32_e32 v22, v52, v27
	v_fmac_f32_e32 v6, v48, v23
	v_mul_f32_e32 v24, v53, v30
	s_delay_alu instid0(VALU_DEP_4) | instskip(SKIP_2) | instid1(VALU_DEP_2)
	v_fma_f32 v7, v47, v23, -v1
	v_mul_f32_e32 v1, v50, v26
	v_mul_f32_e32 v23, v54, v30
	v_fma_f32 v21, v49, v25, -v1
	v_add_f32_e32 v1, v2, v20
	s_delay_alu instid0(VALU_DEP_3) | instskip(NEXT) | instid1(VALU_DEP_2)
	v_fma_f32 v23, v53, v29, -v23
	v_add_f32_e32 v1, v1, v9
	s_delay_alu instid0(VALU_DEP_1)
	v_add_f32_e32 v1, v1, v5
	v_add_f32_e32 v19, v10, v18
	v_mul_f32_e32 v10, v49, v26
	s_wait_loadcnt_dscnt 0x0
	v_mul_f32_e32 v26, v57, v34
	v_add_f32_e32 v1, v1, v7
	v_dual_add_f32 v2, v19, v11 :: v_dual_mul_f32 v19, v52, v28
	v_dual_fmac_f32 v10, v50, v25 :: v_dual_mul_f32 v25, v56, v32
	s_delay_alu instid0(VALU_DEP_2) | instskip(NEXT) | instid1(VALU_DEP_3)
	v_dual_add_f32 v1, v1, v21 :: v_dual_add_f32 v2, v2, v8
	v_fma_f32 v19, v51, v27, -v19
	v_dual_mul_f32 v27, v58, v34 :: v_dual_mul_f32 v28, v55, v32
	s_delay_alu instid0(VALU_DEP_4) | instskip(NEXT) | instid1(VALU_DEP_3)
	v_fma_f32 v25, v55, v31, -v25
	v_dual_add_f32 v2, v2, v4 :: v_dual_add_f32 v1, v1, v19
	s_delay_alu instid0(VALU_DEP_3) | instskip(NEXT) | instid1(VALU_DEP_3)
	v_fma_f32 v27, v57, v33, -v27
	v_dual_fmac_f32 v28, v56, v31 :: v_dual_add_f32 v55, v17, v25
	s_delay_alu instid0(VALU_DEP_3) | instskip(NEXT) | instid1(VALU_DEP_3)
	v_dual_add_f32 v2, v2, v6 :: v_dual_add_f32 v1, v1, v23
	v_add_f32_e32 v30, v12, v27
	v_fmac_f32_e32 v26, v58, v33
	v_sub_f32_e32 v12, v12, v27
	s_delay_alu instid0(VALU_DEP_4) | instskip(SKIP_2) | instid1(VALU_DEP_4)
	v_dual_add_f32 v2, v2, v10 :: v_dual_add_f32 v1, v1, v25
	v_sub_f32_e32 v17, v17, v25
	v_sub_f32_e32 v53, v15, v28
	v_dual_mul_f32 v33, 0xbeedf032, v12 :: v_dual_fmac_f32 v24, v54, v29
	s_delay_alu instid0(VALU_DEP_4) | instskip(SKIP_3) | instid1(VALU_DEP_3)
	v_add_f32_e32 v1, v1, v27
	v_dual_sub_f32 v29, v14, v26 :: v_dual_mul_f32 v34, 0xbf52af12, v12
	v_add_f32_e32 v15, v15, v28
	v_mul_f32_e32 v25, 0xbf52af12, v17
	v_mul_f32_e32 v31, 0xbeedf032, v29
	;; [unrolled: 1-line block ×5, first 2 shown]
	s_delay_alu instid0(VALU_DEP_4)
	v_fma_f32 v32, 0x3f62ad3f, v30, -v31
	v_fmac_f32_e32 v31, 0x3f62ad3f, v30
	v_add_f32_e32 v2, v2, v22
	v_add_f32_e32 v14, v14, v26
	v_fma_f32 v38, 0x3f116cb1, v30, -v27
	v_fmac_f32_e32 v27, 0x3f116cb1, v30
	s_delay_alu instid0(VALU_DEP_4) | instskip(NEXT) | instid1(VALU_DEP_4)
	v_dual_add_f32 v31, v31, v35 :: v_dual_add_f32 v2, v2, v24
	v_fmamk_f32 v39, v14, 0x3f116cb1, v34
	v_mul_f32_e32 v41, 0xbf7e222b, v12
	s_delay_alu instid0(VALU_DEP_4)
	v_add_f32_e32 v27, v27, v35
	v_mul_f32_e32 v49, 0xbf29c268, v12
	v_add_f32_e32 v2, v2, v28
	v_add_f32_e32 v39, v39, v36
	v_mul_f32_e32 v46, 0xbf6f5d39, v12
	v_mul_f32_e32 v12, 0xbe750f2a, v12
	v_fmamk_f32 v51, v14, 0xbf3f9e67, v49
	v_add_f32_e32 v2, v2, v26
	v_add_f32_e32 v26, v32, v35
	v_fmamk_f32 v44, v14, 0x3df6dbef, v41
	v_fma_f32 v41, 0x3df6dbef, v14, -v41
	v_fmamk_f32 v32, v14, 0x3f62ad3f, v33
	v_fma_f32 v33, 0x3f62ad3f, v14, -v33
	;; [unrolled: 2-line block ×3, first 2 shown]
	v_add_f32_e32 v41, v41, v36
	v_add_f32_e32 v32, v32, v36
	;; [unrolled: 1-line block ×3, first 2 shown]
	v_fma_f32 v45, 0xbeb58ec6, v30, -v43
	v_dual_add_f32 v38, v38, v35 :: v_dual_fmac_f32 v43, 0xbeb58ec6, v30
	v_mul_f32_e32 v40, 0xbf7e222b, v29
	v_mul_f32_e32 v29, 0xbe750f2a, v29
	s_delay_alu instid0(VALU_DEP_4)
	v_add_f32_e32 v45, v45, v35
	v_fma_f32 v34, 0x3f116cb1, v14, -v34
	v_add_f32_e32 v43, v43, v35
	v_fma_f32 v42, 0x3df6dbef, v30, -v40
	v_fma_f32 v50, 0xbf3f9e67, v30, -v47
	;; [unrolled: 1-line block ×3, first 2 shown]
	v_dual_add_f32 v34, v34, v36 :: v_dual_fmac_f32 v47, 0xbf3f9e67, v30
	s_delay_alu instid0(VALU_DEP_4)
	v_add_f32_e32 v42, v42, v35
	v_fmac_f32_e32 v40, 0x3df6dbef, v30
	v_add_f32_e32 v50, v50, v35
	v_fma_f32 v49, 0xbf3f9e67, v14, -v49
	v_dual_add_f32 v47, v47, v35 :: v_dual_fmamk_f32 v48, v14, 0xbeb58ec6, v46
	v_fma_f32 v46, 0xbeb58ec6, v14, -v46
	s_delay_alu instid0(VALU_DEP_3)
	v_dual_add_f32 v52, v52, v35 :: v_dual_add_f32 v49, v49, v36
	v_add_f32_e32 v51, v51, v36
	v_add_f32_e32 v44, v44, v36
	;; [unrolled: 1-line block ×3, first 2 shown]
	v_dual_add_f32 v48, v48, v36 :: v_dual_fmac_f32 v29, 0xbf788fa5, v30
	v_add_f32_e32 v46, v46, v36
	v_add_f32_e32 v54, v54, v36
	v_mul_f32_e32 v30, 0xbf6f5d39, v17
	s_delay_alu instid0(VALU_DEP_4) | instskip(SKIP_3) | instid1(VALU_DEP_4)
	v_dual_add_f32 v28, v29, v35 :: v_dual_fmamk_f32 v29, v15, 0x3f116cb1, v25
	v_mul_f32_e32 v56, 0xbf52af12, v53
	v_fma_f32 v25, 0x3f116cb1, v15, -v25
	v_add_f32_e32 v12, v12, v36
	v_dual_mul_f32 v36, 0xbe750f2a, v17 :: v_dual_add_f32 v29, v29, v32
	s_delay_alu instid0(VALU_DEP_4) | instskip(SKIP_2) | instid1(VALU_DEP_3)
	v_fma_f32 v14, 0x3f116cb1, v55, -v56
	v_fmamk_f32 v32, v15, 0xbeb58ec6, v30
	v_fma_f32 v30, 0xbeb58ec6, v15, -v30
	v_dual_add_f32 v25, v25, v33 :: v_dual_add_f32 v14, v14, v26
	v_mul_f32_e32 v26, 0xbf6f5d39, v53
	s_delay_alu instid0(VALU_DEP_1) | instskip(NEXT) | instid1(VALU_DEP_1)
	v_fma_f32 v35, 0xbeb58ec6, v55, -v26
	v_dual_fmac_f32 v26, 0xbeb58ec6, v55 :: v_dual_add_f32 v33, v35, v38
	s_delay_alu instid0(VALU_DEP_1) | instskip(SKIP_2) | instid1(VALU_DEP_3)
	v_dual_mul_f32 v35, 0xbe750f2a, v53 :: v_dual_add_f32 v26, v26, v27
	v_dual_add_f32 v27, v30, v34 :: v_dual_mul_f32 v30, 0x3f29c268, v53
	v_fmamk_f32 v34, v15, 0xbf788fa5, v36
	v_fma_f32 v38, 0xbf788fa5, v55, -v35
	v_fmac_f32_e32 v35, 0xbf788fa5, v55
	v_fmac_f32_e32 v56, 0x3f116cb1, v55
	s_delay_alu instid0(VALU_DEP_4) | instskip(NEXT) | instid1(VALU_DEP_4)
	v_add_f32_e32 v34, v34, v44
	v_add_f32_e32 v38, v38, v42
	v_mul_f32_e32 v42, 0x3f29c268, v17
	v_add_f32_e32 v32, v32, v39
	v_fma_f32 v39, 0xbf3f9e67, v55, -v30
	v_add_f32_e32 v35, v35, v40
	v_dual_add_f32 v31, v56, v31 :: v_dual_mul_f32 v40, 0x3f7e222b, v53
	v_mul_f32_e32 v44, 0x3f7e222b, v17
	s_delay_alu instid0(VALU_DEP_4) | instskip(SKIP_1) | instid1(VALU_DEP_4)
	v_add_f32_e32 v39, v39, v45
	v_mul_f32_e32 v17, 0x3eedf032, v17
	v_fma_f32 v45, 0x3df6dbef, v55, -v40
	s_delay_alu instid0(VALU_DEP_1) | instskip(NEXT) | instid1(VALU_DEP_1)
	v_dual_fmac_f32 v40, 0x3df6dbef, v55 :: v_dual_add_f32 v45, v45, v50
	v_dual_add_f32 v40, v40, v47 :: v_dual_sub_f32 v47, v18, v24
	v_fmac_f32_e32 v30, 0xbf3f9e67, v55
	v_fmamk_f32 v50, v15, 0x3f62ad3f, v17
	v_add_f32_e32 v18, v18, v24
	s_delay_alu instid0(VALU_DEP_3) | instskip(SKIP_1) | instid1(VALU_DEP_2)
	v_dual_add_f32 v30, v30, v43 :: v_dual_fmamk_f32 v43, v15, 0x3df6dbef, v44
	v_fma_f32 v44, 0x3df6dbef, v15, -v44
	v_add_f32_e32 v43, v43, v51
	v_fma_f32 v36, 0xbf788fa5, v15, -v36
	s_delay_alu instid0(VALU_DEP_3) | instskip(SKIP_1) | instid1(VALU_DEP_3)
	v_dual_add_f32 v44, v44, v49 :: v_dual_add_f32 v49, v37, v23
	v_sub_f32_e32 v23, v37, v23
	v_dual_mul_f32 v51, 0xbf7e222b, v47 :: v_dual_add_f32 v36, v36, v41
	v_fmamk_f32 v41, v15, 0xbf3f9e67, v42
	v_fma_f32 v42, 0xbf3f9e67, v15, -v42
	v_fma_f32 v15, 0x3f62ad3f, v15, -v17
	s_delay_alu instid0(VALU_DEP_4) | instskip(SKIP_1) | instid1(VALU_DEP_4)
	v_fma_f32 v17, 0x3df6dbef, v49, -v51
	v_fmac_f32_e32 v51, 0x3df6dbef, v49
	v_dual_add_f32 v41, v41, v48 :: v_dual_add_f32 v42, v42, v46
	v_mul_f32_e32 v46, 0x3eedf032, v53
	v_mul_f32_e32 v24, 0xbf7e222b, v23
	v_dual_add_f32 v12, v15, v12 :: v_dual_mul_f32 v15, 0xbe750f2a, v47
	v_add_f32_e32 v14, v17, v14
	s_delay_alu instid0(VALU_DEP_4) | instskip(SKIP_2) | instid1(VALU_DEP_2)
	v_fma_f32 v48, 0x3f62ad3f, v55, -v46
	v_fmac_f32_e32 v46, 0x3f62ad3f, v55
	v_fmamk_f32 v17, v18, 0x3df6dbef, v24
	v_dual_mul_f32 v37, 0xbe750f2a, v23 :: v_dual_add_f32 v28, v46, v28
	v_fma_f32 v46, 0xbf788fa5, v49, -v15
	s_delay_alu instid0(VALU_DEP_3) | instskip(SKIP_2) | instid1(VALU_DEP_4)
	v_add_f32_e32 v17, v17, v29
	v_add_f32_e32 v29, v51, v31
	v_fmac_f32_e32 v15, 0xbf788fa5, v49
	v_add_f32_e32 v31, v46, v33
	v_mul_f32_e32 v33, 0x3f6f5d39, v47
	v_fma_f32 v24, 0x3df6dbef, v18, -v24
	s_delay_alu instid0(VALU_DEP_4) | instskip(NEXT) | instid1(VALU_DEP_3)
	v_dual_add_f32 v48, v48, v52 :: v_dual_add_f32 v15, v15, v26
	v_fma_f32 v46, 0xbeb58ec6, v49, -v33
	v_fmac_f32_e32 v33, 0xbeb58ec6, v49
	s_delay_alu instid0(VALU_DEP_4) | instskip(SKIP_1) | instid1(VALU_DEP_3)
	v_dual_add_f32 v24, v24, v25 :: v_dual_fmamk_f32 v25, v18, 0xbf788fa5, v37
	v_fma_f32 v37, 0xbf788fa5, v18, -v37
	v_dual_add_f32 v38, v46, v38 :: v_dual_add_f32 v33, v33, v35
	s_delay_alu instid0(VALU_DEP_3) | instskip(NEXT) | instid1(VALU_DEP_3)
	v_dual_add_f32 v50, v50, v54 :: v_dual_add_f32 v25, v25, v32
	v_add_f32_e32 v26, v37, v27
	v_mul_f32_e32 v27, 0x3eedf032, v47
	s_delay_alu instid0(VALU_DEP_1) | instskip(SKIP_2) | instid1(VALU_DEP_3)
	v_fma_f32 v46, 0x3f62ad3f, v49, -v27
	v_fmac_f32_e32 v27, 0x3f62ad3f, v49
	v_mul_f32_e32 v32, 0x3f6f5d39, v23
	v_add_f32_e32 v35, v46, v39
	s_delay_alu instid0(VALU_DEP_3) | instskip(NEXT) | instid1(VALU_DEP_3)
	v_add_f32_e32 v27, v27, v30
	v_fmamk_f32 v37, v18, 0xbeb58ec6, v32
	v_mul_f32_e32 v46, 0xbf52af12, v23
	v_fma_f32 v32, 0xbeb58ec6, v18, -v32
	s_delay_alu instid0(VALU_DEP_3) | instskip(NEXT) | instid1(VALU_DEP_3)
	v_dual_add_f32 v34, v37, v34 :: v_dual_mul_f32 v37, 0x3eedf032, v23
	v_fmamk_f32 v30, v18, 0x3f116cb1, v46
	s_delay_alu instid0(VALU_DEP_2) | instskip(SKIP_2) | instid1(VALU_DEP_4)
	v_fmamk_f32 v39, v18, 0x3f62ad3f, v37
	v_fma_f32 v37, 0x3f62ad3f, v18, -v37
	v_add_f32_e32 v32, v32, v36
	v_add_f32_e32 v30, v30, v43
	v_fma_f32 v43, 0x3f116cb1, v18, -v46
	s_delay_alu instid0(VALU_DEP_4) | instskip(SKIP_1) | instid1(VALU_DEP_3)
	v_dual_mul_f32 v36, 0xbf52af12, v47 :: v_dual_add_f32 v37, v37, v42
	v_dual_mul_f32 v42, 0xbf29c268, v47 :: v_dual_add_f32 v39, v39, v41
	v_add_f32_e32 v43, v43, v44
	s_delay_alu instid0(VALU_DEP_3) | instskip(SKIP_1) | instid1(VALU_DEP_2)
	v_fma_f32 v51, 0x3f116cb1, v49, -v36
	v_fmac_f32_e32 v36, 0x3f116cb1, v49
	v_add_f32_e32 v41, v51, v45
	v_fma_f32 v45, 0xbf3f9e67, v49, -v42
	s_delay_alu instid0(VALU_DEP_1) | instskip(SKIP_3) | instid1(VALU_DEP_3)
	v_dual_add_f32 v44, v45, v48 :: v_dual_add_f32 v45, v20, v19
	v_sub_f32_e32 v19, v20, v19
	v_dual_mul_f32 v23, 0xbf29c268, v23 :: v_dual_add_f32 v36, v36, v40
	v_sub_f32_e32 v40, v11, v22
	v_dual_add_f32 v11, v11, v22 :: v_dual_mul_f32 v22, 0xbf6f5d39, v19
	s_delay_alu instid0(VALU_DEP_3) | instskip(SKIP_1) | instid1(VALU_DEP_4)
	v_fmamk_f32 v46, v18, 0xbf3f9e67, v23
	v_fma_f32 v18, 0xbf3f9e67, v18, -v23
	v_mul_f32_e32 v47, 0xbf6f5d39, v40
	s_delay_alu instid0(VALU_DEP_2) | instskip(NEXT) | instid1(VALU_DEP_2)
	v_add_f32_e32 v12, v18, v12
	v_fma_f32 v20, 0xbeb58ec6, v45, -v47
	s_delay_alu instid0(VALU_DEP_1) | instskip(SKIP_2) | instid1(VALU_DEP_2)
	v_dual_fmac_f32 v47, 0xbeb58ec6, v45 :: v_dual_add_f32 v14, v20, v14
	v_fmamk_f32 v20, v11, 0xbeb58ec6, v22
	v_fma_f32 v22, 0xbeb58ec6, v11, -v22
	v_add_f32_e32 v17, v20, v17
	v_fmac_f32_e32 v42, 0xbf3f9e67, v49
	s_delay_alu instid0(VALU_DEP_3) | instskip(NEXT) | instid1(VALU_DEP_2)
	v_add_f32_e32 v22, v22, v24
	v_add_f32_e32 v23, v42, v28
	v_mul_f32_e32 v18, 0x3f29c268, v40
	v_add_f32_e32 v20, v47, v29
	s_delay_alu instid0(VALU_DEP_2) | instskip(NEXT) | instid1(VALU_DEP_1)
	v_fma_f32 v42, 0xbf3f9e67, v45, -v18
	v_add_f32_e32 v29, v42, v31
	v_mul_f32_e32 v31, 0x3eedf032, v40
	s_delay_alu instid0(VALU_DEP_1) | instskip(NEXT) | instid1(VALU_DEP_1)
	v_fma_f32 v42, 0x3f62ad3f, v45, -v31
	v_dual_fmac_f32 v31, 0x3f62ad3f, v45 :: v_dual_add_f32 v38, v42, v38
	s_delay_alu instid0(VALU_DEP_1) | instskip(SKIP_1) | instid1(VALU_DEP_1)
	v_add_f32_e32 v31, v31, v33
	v_dual_mul_f32 v33, 0x3e750f2a, v40 :: v_dual_add_f32 v46, v46, v50
	v_fma_f32 v47, 0xbf788fa5, v45, -v33
	v_mul_f32_e32 v28, 0x3f29c268, v19
	v_fmac_f32_e32 v33, 0xbf788fa5, v45
	s_delay_alu instid0(VALU_DEP_1) | instskip(SKIP_2) | instid1(VALU_DEP_3)
	v_dual_fmamk_f32 v24, v11, 0xbf3f9e67, v28 :: v_dual_add_f32 v33, v33, v36
	v_fma_f32 v28, 0xbf3f9e67, v11, -v28
	v_sub_f32_e32 v36, v8, v10
	v_dual_add_f32 v24, v24, v25 :: v_dual_mul_f32 v25, 0x3eedf032, v19
	v_fmac_f32_e32 v18, 0xbf3f9e67, v45
	s_delay_alu instid0(VALU_DEP_1) | instskip(SKIP_1) | instid1(VALU_DEP_4)
	v_dual_add_f32 v15, v18, v15 :: v_dual_add_f32 v18, v28, v26
	v_mul_f32_e32 v26, 0xbf7e222b, v40
	v_fmamk_f32 v28, v11, 0x3f62ad3f, v25
	v_fma_f32 v25, 0x3f62ad3f, v11, -v25
	s_delay_alu instid0(VALU_DEP_3) | instskip(NEXT) | instid1(VALU_DEP_3)
	v_fma_f32 v42, 0x3df6dbef, v45, -v26
	v_add_f32_e32 v28, v28, v34
	s_delay_alu instid0(VALU_DEP_3) | instskip(NEXT) | instid1(VALU_DEP_3)
	v_dual_mul_f32 v34, 0xbf7e222b, v19 :: v_dual_add_f32 v25, v25, v32
	v_add_f32_e32 v32, v42, v35
	v_mul_f32_e32 v42, 0x3e750f2a, v19
	s_delay_alu instid0(VALU_DEP_3) | instskip(SKIP_2) | instid1(VALU_DEP_3)
	v_fmamk_f32 v35, v11, 0x3df6dbef, v34
	v_fma_f32 v34, 0x3df6dbef, v11, -v34
	v_mul_f32_e32 v19, 0x3f52af12, v19
	v_add_f32_e32 v35, v35, v39
	v_mul_f32_e32 v39, 0x3f52af12, v40
	s_delay_alu instid0(VALU_DEP_1) | instskip(SKIP_3) | instid1(VALU_DEP_2)
	v_fma_f32 v40, 0x3f116cb1, v45, -v39
	v_fmac_f32_e32 v39, 0x3f116cb1, v45
	v_fmac_f32_e32 v26, 0x3df6dbef, v45
	v_add_f32_e32 v8, v8, v10
	v_add_f32_e32 v26, v26, v27
	v_dual_add_f32 v27, v34, v37 :: v_dual_fmamk_f32 v34, v11, 0xbf788fa5, v42
	v_add_f32_e32 v37, v47, v41
	s_delay_alu instid0(VALU_DEP_2)
	v_dual_fmamk_f32 v41, v11, 0x3f116cb1, v19 :: v_dual_add_f32 v30, v34, v30
	v_fma_f32 v34, 0xbf788fa5, v11, -v42
	v_add_f32_e32 v42, v9, v21
	v_sub_f32_e32 v9, v9, v21
	v_fma_f32 v11, 0x3f116cb1, v11, -v19
	v_add_f32_e32 v40, v40, v44
	v_dual_add_f32 v34, v34, v43 :: v_dual_mul_f32 v43, 0xbf29c268, v36
	s_delay_alu instid0(VALU_DEP_4) | instskip(NEXT) | instid1(VALU_DEP_4)
	v_mul_f32_e32 v19, 0xbf29c268, v9
	v_add_f32_e32 v11, v11, v12
	v_dual_mul_f32 v12, 0x3f7e222b, v36 :: v_dual_add_f32 v21, v39, v23
	s_delay_alu instid0(VALU_DEP_4) | instskip(SKIP_2) | instid1(VALU_DEP_3)
	v_fma_f32 v10, 0xbf3f9e67, v42, -v43
	v_mul_f32_e32 v39, 0x3f7e222b, v9
	v_add_f32_e32 v41, v41, v46
	v_add_f32_e32 v10, v10, v14
	v_fmamk_f32 v14, v8, 0xbf3f9e67, v19
	v_fma_f32 v19, 0xbf3f9e67, v8, -v19
	s_delay_alu instid0(VALU_DEP_1) | instskip(SKIP_2) | instid1(VALU_DEP_2)
	v_dual_add_f32 v14, v14, v17 :: v_dual_add_f32 v19, v19, v22
	v_fmac_f32_e32 v43, 0xbf3f9e67, v42
	v_fma_f32 v23, 0x3df6dbef, v42, -v12
	v_add_f32_e32 v17, v43, v20
	s_delay_alu instid0(VALU_DEP_2) | instskip(SKIP_3) | instid1(VALU_DEP_3)
	v_dual_add_f32 v20, v23, v29 :: v_dual_mul_f32 v23, 0xbf52af12, v36
	v_fmamk_f32 v22, v8, 0x3df6dbef, v39
	v_fma_f32 v29, 0x3df6dbef, v8, -v39
	v_mul_f32_e32 v39, 0xbf52af12, v9
	v_dual_mul_f32 v43, 0x3eedf032, v9 :: v_dual_add_f32 v22, v22, v24
	v_fma_f32 v24, 0x3f116cb1, v42, -v23
	v_fmac_f32_e32 v23, 0x3f116cb1, v42
	s_delay_alu instid0(VALU_DEP_1) | instskip(SKIP_2) | instid1(VALU_DEP_2)
	v_dual_add_f32 v24, v24, v38 :: v_dual_add_f32 v23, v23, v31
	v_fmac_f32_e32 v12, 0x3df6dbef, v42
	v_fma_f32 v38, 0x3f116cb1, v8, -v39
	v_dual_mul_f32 v31, 0x3eedf032, v36 :: v_dual_add_f32 v12, v12, v15
	v_dual_add_f32 v15, v29, v18 :: v_dual_fmamk_f32 v18, v8, 0x3f116cb1, v39
	v_mul_f32_e32 v29, 0x3e750f2a, v36
	v_mul_f32_e32 v39, 0x3e750f2a, v9
	v_add_f32_e32 v25, v38, v25
	s_delay_alu instid0(VALU_DEP_4) | instskip(NEXT) | instid1(VALU_DEP_4)
	v_dual_mul_f32 v9, 0xbf6f5d39, v9 :: v_dual_add_f32 v18, v18, v28
	v_fma_f32 v28, 0xbf788fa5, v42, -v29
	v_fmac_f32_e32 v29, 0xbf788fa5, v42
	v_fma_f32 v38, 0xbf788fa5, v8, -v39
	s_delay_alu instid0(VALU_DEP_3) | instskip(SKIP_2) | instid1(VALU_DEP_4)
	v_add_f32_e32 v28, v28, v32
	v_fmamk_f32 v32, v8, 0xbf788fa5, v39
	v_fma_f32 v39, 0x3f62ad3f, v42, -v31
	v_dual_add_f32 v26, v29, v26 :: v_dual_add_f32 v27, v38, v27
	s_delay_alu instid0(VALU_DEP_3) | instskip(NEXT) | instid1(VALU_DEP_3)
	v_dual_fmac_f32 v31, 0x3f62ad3f, v42 :: v_dual_add_f32 v32, v32, v35
	v_add_f32_e32 v29, v39, v37
	v_fmamk_f32 v35, v8, 0x3f62ad3f, v43
	v_fma_f32 v37, 0x3f62ad3f, v8, -v43
	v_fmamk_f32 v38, v8, 0xbeb58ec6, v9
	v_dual_mul_f32 v36, 0xbf6f5d39, v36 :: v_dual_add_f32 v31, v31, v33
	s_delay_alu instid0(VALU_DEP_4) | instskip(NEXT) | instid1(VALU_DEP_4)
	v_dual_add_f32 v30, v35, v30 :: v_dual_sub_f32 v39, v5, v7
	v_add_f32_e32 v33, v37, v34
	s_delay_alu instid0(VALU_DEP_4) | instskip(NEXT) | instid1(VALU_DEP_4)
	v_dual_sub_f32 v34, v4, v6 :: v_dual_add_f32 v37, v38, v41
	v_fma_f32 v35, 0xbeb58ec6, v42, -v36
	v_add_f32_e32 v38, v5, v7
	v_fma_f32 v5, 0xbeb58ec6, v8, -v9
	s_delay_alu instid0(VALU_DEP_4) | instskip(NEXT) | instid1(VALU_DEP_4)
	v_mul_f32_e32 v7, 0xbe750f2a, v34
	v_dual_add_f32 v35, v35, v40 :: v_dual_add_f32 v40, v4, v6
	v_mul_f32_e32 v6, 0xbe750f2a, v39
	s_delay_alu instid0(VALU_DEP_3) | instskip(SKIP_2) | instid1(VALU_DEP_4)
	v_fma_f32 v4, 0xbf788fa5, v38, -v7
	v_add_f32_e32 v41, v5, v11
	v_fmac_f32_e32 v7, 0xbf788fa5, v38
	v_fmamk_f32 v5, v40, 0xbf788fa5, v6
	s_delay_alu instid0(VALU_DEP_1) | instskip(SKIP_1) | instid1(VALU_DEP_4)
	v_add_f32_e32 v5, v5, v14
	v_fma_f32 v8, 0xbf788fa5, v40, -v6
	v_add_f32_e32 v6, v7, v17
	s_delay_alu instid0(VALU_DEP_2) | instskip(NEXT) | instid1(VALU_DEP_1)
	v_dual_fmac_f32 v36, 0xbeb58ec6, v42 :: v_dual_add_f32 v7, v8, v19
	v_dual_mul_f32 v19, 0xbf29c268, v39 :: v_dual_add_f32 v36, v36, v21
	v_mul_f32_e32 v11, 0x3eedf032, v34
	v_mul_f32_e32 v21, 0x3f52af12, v34
	s_delay_alu instid0(VALU_DEP_2) | instskip(SKIP_1) | instid1(VALU_DEP_2)
	v_fma_f32 v9, 0x3f62ad3f, v38, -v11
	v_fmac_f32_e32 v11, 0x3f62ad3f, v38
	v_dual_mul_f32 v17, 0xbf29c268, v34 :: v_dual_add_f32 v8, v9, v20
	s_delay_alu instid0(VALU_DEP_1) | instskip(SKIP_3) | instid1(VALU_DEP_1)
	v_fma_f32 v20, 0xbf3f9e67, v38, -v17
	v_fmac_f32_e32 v17, 0xbf3f9e67, v38
	v_add_f32_e32 v4, v4, v10
	v_mul_f32_e32 v10, 0x3eedf032, v39
	v_fmamk_f32 v9, v40, 0x3f62ad3f, v10
	s_delay_alu instid0(VALU_DEP_1) | instskip(SKIP_1) | instid1(VALU_DEP_1)
	v_add_f32_e32 v9, v9, v22
	v_fma_f32 v14, 0x3f62ad3f, v40, -v10
	v_dual_add_f32 v10, v11, v12 :: v_dual_add_f32 v11, v14, v15
	v_add_f32_e32 v14, v20, v24
	v_fma_f32 v20, 0x3f116cb1, v38, -v21
	v_fmac_f32_e32 v21, 0x3f116cb1, v38
	v_fmamk_f32 v12, v40, 0xbf3f9e67, v19
	v_fma_f32 v19, 0xbf3f9e67, v40, -v19
	v_mul_f32_e32 v42, 0xbf6f5d39, v34
	s_delay_alu instid0(VALU_DEP_4) | instskip(NEXT) | instid1(VALU_DEP_4)
	v_add_f32_e32 v21, v21, v26
	v_dual_add_f32 v15, v12, v18 :: v_dual_mul_f32 v12, 0x3f52af12, v39
	s_delay_alu instid0(VALU_DEP_4) | instskip(SKIP_2) | instid1(VALU_DEP_4)
	v_add_f32_e32 v18, v19, v25
	v_mad_co_u64_u32 v[25:26], null, s12, v16, 0
	v_dual_add_f32 v19, v20, v28 :: v_dual_mul_f32 v28, 0xbf6f5d39, v39
	v_fmamk_f32 v22, v40, 0x3f116cb1, v12
	v_fma_f32 v12, 0x3f116cb1, v40, -v12
	s_delay_alu instid0(VALU_DEP_2) | instskip(SKIP_1) | instid1(VALU_DEP_3)
	v_dual_add_f32 v20, v22, v32 :: v_dual_add_f32 v17, v17, v23
	v_fma_f32 v23, 0xbeb58ec6, v38, -v42
	v_add_f32_e32 v22, v12, v27
	v_fmac_f32_e32 v42, 0xbeb58ec6, v38
	v_fmamk_f32 v12, v40, 0xbeb58ec6, v28
	s_delay_alu instid0(VALU_DEP_4) | instskip(SKIP_1) | instid1(VALU_DEP_4)
	v_dual_mul_f32 v32, 0x3f7e222b, v39 :: v_dual_add_f32 v23, v23, v29
	v_mul_lo_u16 v29, 0xa9, v0
	v_add_f32_e32 v27, v42, v31
	s_delay_alu instid0(VALU_DEP_3) | instskip(SKIP_3) | instid1(VALU_DEP_4)
	v_dual_mov_b32 v0, v26 :: v_dual_fmamk_f32 v31, v40, 0x3df6dbef, v32
	v_add_f32_e32 v24, v12, v30
	v_mul_f32_e32 v12, 0x3f7e222b, v34
	v_and_b32_e32 v34, 0xffff, v29
	v_mad_co_u64_u32 v[29:30], null, s13, v16, v[0:1]
	v_add_f32_e32 v31, v31, v37
	s_delay_alu instid0(VALU_DEP_4)
	v_fma_f32 v26, 0x3df6dbef, v38, -v12
	v_fmac_f32_e32 v12, 0x3df6dbef, v38
	v_add_nc_u32_e32 v0, v3, v34
	v_fma_f32 v3, 0x3df6dbef, v40, -v32
	v_fma_f32 v28, 0xbeb58ec6, v40, -v28
	v_add_f32_e32 v30, v26, v35
	v_add_f32_e32 v32, v12, v36
	v_mov_b32_e32 v26, v29
	v_mul_lo_u32 v12, v0, s14
	v_add_f32_e32 v28, v28, v33
	v_add_f32_e32 v33, v3, v41
	s_delay_alu instid0(VALU_DEP_4) | instskip(NEXT) | instid1(VALU_DEP_4)
	v_lshlrev_b64_e32 v[25:26], 3, v[25:26]
	v_lshlrev_b64_e32 v[34:35], 3, v[12:13]
	s_wait_alu 0xfffe
	v_add_nc_u32_e32 v12, s2, v12
	s_delay_alu instid0(VALU_DEP_3) | instskip(SKIP_2) | instid1(VALU_DEP_3)
	v_add_co_u32 v16, vcc_lo, s0, v25
	s_wait_alu 0xfffd
	v_add_co_ci_u32_e32 v29, vcc_lo, s1, v26, vcc_lo
	v_lshlrev_b64_e32 v[25:26], 3, v[12:13]
	v_add_nc_u32_e32 v12, s2, v12
	v_add_co_u32 v34, vcc_lo, v16, v34
	s_wait_alu 0xfffd
	v_add_co_ci_u32_e32 v35, vcc_lo, v29, v35, vcc_lo
	s_delay_alu instid0(VALU_DEP_3) | instskip(SKIP_4) | instid1(VALU_DEP_3)
	v_lshlrev_b64_e32 v[36:37], 3, v[12:13]
	v_add_nc_u32_e32 v12, s2, v12
	v_add_co_u32 v25, vcc_lo, v16, v25
	s_wait_alu 0xfffd
	v_add_co_ci_u32_e32 v26, vcc_lo, v29, v26, vcc_lo
	v_lshlrev_b64_e32 v[38:39], 3, v[12:13]
	v_add_nc_u32_e32 v12, s2, v12
	v_add_co_u32 v36, vcc_lo, v16, v36
	s_wait_alu 0xfffd
	v_add_co_ci_u32_e32 v37, vcc_lo, v29, v37, vcc_lo
	s_delay_alu instid0(VALU_DEP_3)
	v_lshlrev_b64_e32 v[40:41], 3, v[12:13]
	v_add_nc_u32_e32 v12, s2, v12
	v_add_co_u32 v38, vcc_lo, v16, v38
	s_wait_alu 0xfffd
	v_add_co_ci_u32_e32 v39, vcc_lo, v29, v39, vcc_lo
	s_clause 0x3
	global_store_b64 v[34:35], v[1:2], off
	global_store_b64 v[25:26], v[4:5], off
	;; [unrolled: 1-line block ×4, first 2 shown]
	v_lshlrev_b64_e32 v[0:1], 3, v[12:13]
	v_add_nc_u32_e32 v12, s2, v12
	v_add_co_u32 v2, vcc_lo, v16, v40
	s_wait_alu 0xfffd
	v_add_co_ci_u32_e32 v3, vcc_lo, v29, v41, vcc_lo
	s_delay_alu instid0(VALU_DEP_3) | instskip(SKIP_4) | instid1(VALU_DEP_3)
	v_lshlrev_b64_e32 v[4:5], 3, v[12:13]
	v_add_nc_u32_e32 v12, s2, v12
	v_add_co_u32 v0, vcc_lo, v16, v0
	s_wait_alu 0xfffd
	v_add_co_ci_u32_e32 v1, vcc_lo, v29, v1, vcc_lo
	v_lshlrev_b64_e32 v[8:9], 3, v[12:13]
	v_add_nc_u32_e32 v12, s2, v12
	v_add_co_u32 v4, vcc_lo, v16, v4
	s_wait_alu 0xfffd
	v_add_co_ci_u32_e32 v5, vcc_lo, v29, v5, vcc_lo
	s_delay_alu instid0(VALU_DEP_3)
	v_lshlrev_b64_e32 v[14:15], 3, v[12:13]
	v_add_nc_u32_e32 v12, s2, v12
	v_add_co_u32 v8, vcc_lo, v16, v8
	s_wait_alu 0xfffd
	v_add_co_ci_u32_e32 v9, vcc_lo, v29, v9, vcc_lo
	s_clause 0x3
	global_store_b64 v[2:3], v[19:20], off
	global_store_b64 v[0:1], v[23:24], off
	;; [unrolled: 1-line block ×4, first 2 shown]
	v_lshlrev_b64_e32 v[0:1], 3, v[12:13]
	v_add_nc_u32_e32 v12, s2, v12
	v_add_co_u32 v2, vcc_lo, v16, v14
	s_wait_alu 0xfffd
	v_add_co_ci_u32_e32 v3, vcc_lo, v29, v15, vcc_lo
	s_delay_alu instid0(VALU_DEP_3) | instskip(SKIP_4) | instid1(VALU_DEP_3)
	v_lshlrev_b64_e32 v[4:5], 3, v[12:13]
	v_add_nc_u32_e32 v12, s2, v12
	v_add_co_u32 v0, vcc_lo, v16, v0
	s_wait_alu 0xfffd
	v_add_co_ci_u32_e32 v1, vcc_lo, v29, v1, vcc_lo
	v_lshlrev_b64_e32 v[8:9], 3, v[12:13]
	v_add_nc_u32_e32 v12, s2, v12
	v_add_co_u32 v4, vcc_lo, v16, v4
	s_wait_alu 0xfffd
	v_add_co_ci_u32_e32 v5, vcc_lo, v29, v5, vcc_lo
	s_delay_alu instid0(VALU_DEP_3) | instskip(SKIP_3) | instid1(VALU_DEP_3)
	v_lshlrev_b64_e32 v[12:13], 3, v[12:13]
	v_add_co_u32 v8, vcc_lo, v16, v8
	s_wait_alu 0xfffd
	v_add_co_ci_u32_e32 v9, vcc_lo, v29, v9, vcc_lo
	v_add_co_u32 v12, vcc_lo, v16, v12
	s_wait_alu 0xfffd
	v_add_co_ci_u32_e32 v13, vcc_lo, v29, v13, vcc_lo
	s_clause 0x4
	global_store_b64 v[2:3], v[27:28], off
	global_store_b64 v[0:1], v[21:22], off
	;; [unrolled: 1-line block ×5, first 2 shown]
	s_nop 0
	s_sendmsg sendmsg(MSG_DEALLOC_VGPRS)
	s_endpgm
	.section	.rodata,"a",@progbits
	.p2align	6, 0x0
	.amdhsa_kernel fft_rtc_fwd_len169_factors_13_13_wgs_156_tpt_13_sp_op_CI_CI_sbrc_aligned_dirReg
		.amdhsa_group_segment_fixed_size 0
		.amdhsa_private_segment_fixed_size 0
		.amdhsa_kernarg_size 104
		.amdhsa_user_sgpr_count 2
		.amdhsa_user_sgpr_dispatch_ptr 0
		.amdhsa_user_sgpr_queue_ptr 0
		.amdhsa_user_sgpr_kernarg_segment_ptr 1
		.amdhsa_user_sgpr_dispatch_id 0
		.amdhsa_user_sgpr_private_segment_size 0
		.amdhsa_wavefront_size32 1
		.amdhsa_uses_dynamic_stack 0
		.amdhsa_enable_private_segment 0
		.amdhsa_system_sgpr_workgroup_id_x 1
		.amdhsa_system_sgpr_workgroup_id_y 0
		.amdhsa_system_sgpr_workgroup_id_z 0
		.amdhsa_system_sgpr_workgroup_info 0
		.amdhsa_system_vgpr_workitem_id 0
		.amdhsa_next_free_vgpr 67
		.amdhsa_next_free_sgpr 48
		.amdhsa_reserve_vcc 1
		.amdhsa_float_round_mode_32 0
		.amdhsa_float_round_mode_16_64 0
		.amdhsa_float_denorm_mode_32 3
		.amdhsa_float_denorm_mode_16_64 3
		.amdhsa_fp16_overflow 0
		.amdhsa_workgroup_processor_mode 1
		.amdhsa_memory_ordered 1
		.amdhsa_forward_progress 0
		.amdhsa_round_robin_scheduling 0
		.amdhsa_exception_fp_ieee_invalid_op 0
		.amdhsa_exception_fp_denorm_src 0
		.amdhsa_exception_fp_ieee_div_zero 0
		.amdhsa_exception_fp_ieee_overflow 0
		.amdhsa_exception_fp_ieee_underflow 0
		.amdhsa_exception_fp_ieee_inexact 0
		.amdhsa_exception_int_div_zero 0
	.end_amdhsa_kernel
	.text
.Lfunc_end0:
	.size	fft_rtc_fwd_len169_factors_13_13_wgs_156_tpt_13_sp_op_CI_CI_sbrc_aligned_dirReg, .Lfunc_end0-fft_rtc_fwd_len169_factors_13_13_wgs_156_tpt_13_sp_op_CI_CI_sbrc_aligned_dirReg
                                        ; -- End function
	.section	.AMDGPU.csdata,"",@progbits
; Kernel info:
; codeLenInByte = 11336
; NumSgprs: 50
; NumVgprs: 67
; ScratchSize: 0
; MemoryBound: 0
; FloatMode: 240
; IeeeMode: 1
; LDSByteSize: 0 bytes/workgroup (compile time only)
; SGPRBlocks: 6
; VGPRBlocks: 8
; NumSGPRsForWavesPerEU: 50
; NumVGPRsForWavesPerEU: 67
; Occupancy: 15
; WaveLimiterHint : 1
; COMPUTE_PGM_RSRC2:SCRATCH_EN: 0
; COMPUTE_PGM_RSRC2:USER_SGPR: 2
; COMPUTE_PGM_RSRC2:TRAP_HANDLER: 0
; COMPUTE_PGM_RSRC2:TGID_X_EN: 1
; COMPUTE_PGM_RSRC2:TGID_Y_EN: 0
; COMPUTE_PGM_RSRC2:TGID_Z_EN: 0
; COMPUTE_PGM_RSRC2:TIDIG_COMP_CNT: 0
	.text
	.p2alignl 7, 3214868480
	.fill 96, 4, 3214868480
	.type	__hip_cuid_9440c3a0fcd87985,@object ; @__hip_cuid_9440c3a0fcd87985
	.section	.bss,"aw",@nobits
	.globl	__hip_cuid_9440c3a0fcd87985
__hip_cuid_9440c3a0fcd87985:
	.byte	0                               ; 0x0
	.size	__hip_cuid_9440c3a0fcd87985, 1

	.ident	"AMD clang version 19.0.0git (https://github.com/RadeonOpenCompute/llvm-project roc-6.4.0 25133 c7fe45cf4b819c5991fe208aaa96edf142730f1d)"
	.section	".note.GNU-stack","",@progbits
	.addrsig
	.addrsig_sym __hip_cuid_9440c3a0fcd87985
	.amdgpu_metadata
---
amdhsa.kernels:
  - .args:
      - .actual_access:  read_only
        .address_space:  global
        .offset:         0
        .size:           8
        .value_kind:     global_buffer
      - .offset:         8
        .size:           8
        .value_kind:     by_value
      - .actual_access:  read_only
        .address_space:  global
        .offset:         16
        .size:           8
        .value_kind:     global_buffer
      - .actual_access:  read_only
        .address_space:  global
        .offset:         24
        .size:           8
        .value_kind:     global_buffer
      - .actual_access:  read_only
        .address_space:  global
        .offset:         32
        .size:           8
        .value_kind:     global_buffer
      - .offset:         40
        .size:           8
        .value_kind:     by_value
      - .actual_access:  read_only
        .address_space:  global
        .offset:         48
        .size:           8
        .value_kind:     global_buffer
      - .actual_access:  read_only
        .address_space:  global
        .offset:         56
        .size:           8
        .value_kind:     global_buffer
      - .offset:         64
        .size:           4
        .value_kind:     by_value
      - .actual_access:  read_only
        .address_space:  global
        .offset:         72
        .size:           8
        .value_kind:     global_buffer
      - .actual_access:  read_only
        .address_space:  global
        .offset:         80
        .size:           8
        .value_kind:     global_buffer
      - .actual_access:  read_only
        .address_space:  global
        .offset:         88
        .size:           8
        .value_kind:     global_buffer
      - .actual_access:  write_only
        .address_space:  global
        .offset:         96
        .size:           8
        .value_kind:     global_buffer
    .group_segment_fixed_size: 0
    .kernarg_segment_align: 8
    .kernarg_segment_size: 104
    .language:       OpenCL C
    .language_version:
      - 2
      - 0
    .max_flat_workgroup_size: 156
    .name:           fft_rtc_fwd_len169_factors_13_13_wgs_156_tpt_13_sp_op_CI_CI_sbrc_aligned_dirReg
    .private_segment_fixed_size: 0
    .sgpr_count:     50
    .sgpr_spill_count: 0
    .symbol:         fft_rtc_fwd_len169_factors_13_13_wgs_156_tpt_13_sp_op_CI_CI_sbrc_aligned_dirReg.kd
    .uniform_work_group_size: 1
    .uses_dynamic_stack: false
    .vgpr_count:     67
    .vgpr_spill_count: 0
    .wavefront_size: 32
    .workgroup_processor_mode: 1
amdhsa.target:   amdgcn-amd-amdhsa--gfx1201
amdhsa.version:
  - 1
  - 2
...

	.end_amdgpu_metadata
